;; amdgpu-corpus repo=ROCm/rocFFT kind=compiled arch=gfx1201 opt=O3
	.text
	.amdgcn_target "amdgcn-amd-amdhsa--gfx1201"
	.amdhsa_code_object_version 6
	.protected	fft_rtc_back_len924_factors_2_2_3_7_11_wgs_44_tpt_44_halfLds_sp_op_CI_CI_sbrr_dirReg ; -- Begin function fft_rtc_back_len924_factors_2_2_3_7_11_wgs_44_tpt_44_halfLds_sp_op_CI_CI_sbrr_dirReg
	.globl	fft_rtc_back_len924_factors_2_2_3_7_11_wgs_44_tpt_44_halfLds_sp_op_CI_CI_sbrr_dirReg
	.p2align	8
	.type	fft_rtc_back_len924_factors_2_2_3_7_11_wgs_44_tpt_44_halfLds_sp_op_CI_CI_sbrr_dirReg,@function
fft_rtc_back_len924_factors_2_2_3_7_11_wgs_44_tpt_44_halfLds_sp_op_CI_CI_sbrr_dirReg: ; @fft_rtc_back_len924_factors_2_2_3_7_11_wgs_44_tpt_44_halfLds_sp_op_CI_CI_sbrr_dirReg
; %bb.0:
	s_clause 0x2
	s_load_b128 s[12:15], s[0:1], 0x18
	s_load_b128 s[4:7], s[0:1], 0x0
	;; [unrolled: 1-line block ×3, first 2 shown]
	v_mul_u32_u24_e32 v1, 0x5d2, v0
	v_mov_b32_e32 v28, 0
	v_mov_b32_e32 v29, 0
	s_wait_kmcnt 0x0
	s_load_b64 s[18:19], s[12:13], 0x0
	s_load_b64 s[16:17], s[14:15], 0x0
	v_lshrrev_b32_e32 v2, 16, v1
	v_mov_b32_e32 v1, 0
	v_cmp_lt_u64_e64 s2, s[6:7], 2
	s_delay_alu instid0(VALU_DEP_2) | instskip(NEXT) | instid1(VALU_DEP_2)
	v_dual_mov_b32 v4, v1 :: v_dual_add_nc_u32 v3, ttmp9, v2
	s_and_b32 vcc_lo, exec_lo, s2
	s_cbranch_vccnz .LBB0_8
; %bb.1:
	s_load_b64 s[2:3], s[0:1], 0x10
	v_mov_b32_e32 v28, 0
	v_mov_b32_e32 v29, 0
	s_delay_alu instid0(VALU_DEP_2)
	v_mov_b32_e32 v20, v28
	s_add_nc_u64 s[20:21], s[14:15], 8
	s_add_nc_u64 s[22:23], s[12:13], 8
	s_mov_b64 s[24:25], 1
	v_mov_b32_e32 v21, v29
	s_wait_kmcnt 0x0
	s_add_nc_u64 s[26:27], s[2:3], 8
	s_mov_b32 s3, 0
.LBB0_2:                                ; =>This Inner Loop Header: Depth=1
	s_load_b64 s[28:29], s[26:27], 0x0
                                        ; implicit-def: $vgpr26_vgpr27
	s_mov_b32 s2, exec_lo
	s_wait_kmcnt 0x0
	v_or_b32_e32 v2, s29, v4
	s_delay_alu instid0(VALU_DEP_1)
	v_cmpx_ne_u64_e32 0, v[1:2]
	s_wait_alu 0xfffe
	s_xor_b32 s30, exec_lo, s2
	s_cbranch_execz .LBB0_4
; %bb.3:                                ;   in Loop: Header=BB0_2 Depth=1
	s_cvt_f32_u32 s2, s28
	s_cvt_f32_u32 s31, s29
	s_sub_nc_u64 s[36:37], 0, s[28:29]
	s_wait_alu 0xfffe
	s_delay_alu instid0(SALU_CYCLE_1) | instskip(SKIP_1) | instid1(SALU_CYCLE_2)
	s_fmamk_f32 s2, s31, 0x4f800000, s2
	s_wait_alu 0xfffe
	v_s_rcp_f32 s2, s2
	s_delay_alu instid0(TRANS32_DEP_1) | instskip(SKIP_1) | instid1(SALU_CYCLE_2)
	s_mul_f32 s2, s2, 0x5f7ffffc
	s_wait_alu 0xfffe
	s_mul_f32 s31, s2, 0x2f800000
	s_wait_alu 0xfffe
	s_delay_alu instid0(SALU_CYCLE_2) | instskip(SKIP_1) | instid1(SALU_CYCLE_2)
	s_trunc_f32 s31, s31
	s_wait_alu 0xfffe
	s_fmamk_f32 s2, s31, 0xcf800000, s2
	s_cvt_u32_f32 s35, s31
	s_wait_alu 0xfffe
	s_delay_alu instid0(SALU_CYCLE_1) | instskip(SKIP_1) | instid1(SALU_CYCLE_2)
	s_cvt_u32_f32 s34, s2
	s_wait_alu 0xfffe
	s_mul_u64 s[38:39], s[36:37], s[34:35]
	s_wait_alu 0xfffe
	s_mul_hi_u32 s41, s34, s39
	s_mul_i32 s40, s34, s39
	s_mul_hi_u32 s2, s34, s38
	s_mul_i32 s33, s35, s38
	s_wait_alu 0xfffe
	s_add_nc_u64 s[40:41], s[2:3], s[40:41]
	s_mul_hi_u32 s31, s35, s38
	s_mul_hi_u32 s42, s35, s39
	s_add_co_u32 s2, s40, s33
	s_wait_alu 0xfffe
	s_add_co_ci_u32 s2, s41, s31
	s_mul_i32 s38, s35, s39
	s_add_co_ci_u32 s39, s42, 0
	s_wait_alu 0xfffe
	s_add_nc_u64 s[38:39], s[2:3], s[38:39]
	s_wait_alu 0xfffe
	v_add_co_u32 v2, s2, s34, s38
	s_delay_alu instid0(VALU_DEP_1) | instskip(SKIP_1) | instid1(VALU_DEP_1)
	s_cmp_lg_u32 s2, 0
	s_add_co_ci_u32 s35, s35, s39
	v_readfirstlane_b32 s34, v2
	s_wait_alu 0xfffe
	s_delay_alu instid0(VALU_DEP_1)
	s_mul_u64 s[36:37], s[36:37], s[34:35]
	s_wait_alu 0xfffe
	s_mul_hi_u32 s39, s34, s37
	s_mul_i32 s38, s34, s37
	s_mul_hi_u32 s2, s34, s36
	s_mul_i32 s33, s35, s36
	s_wait_alu 0xfffe
	s_add_nc_u64 s[38:39], s[2:3], s[38:39]
	s_mul_hi_u32 s31, s35, s36
	s_mul_hi_u32 s34, s35, s37
	s_wait_alu 0xfffe
	s_add_co_u32 s2, s38, s33
	s_add_co_ci_u32 s2, s39, s31
	s_mul_i32 s36, s35, s37
	s_add_co_ci_u32 s37, s34, 0
	s_wait_alu 0xfffe
	s_add_nc_u64 s[36:37], s[2:3], s[36:37]
	s_wait_alu 0xfffe
	v_add_co_u32 v2, s2, v2, s36
	s_delay_alu instid0(VALU_DEP_1) | instskip(SKIP_1) | instid1(VALU_DEP_1)
	s_cmp_lg_u32 s2, 0
	s_add_co_ci_u32 s2, s35, s37
	v_mul_hi_u32 v11, v3, v2
	s_wait_alu 0xfffe
	v_mad_co_u64_u32 v[5:6], null, v3, s2, 0
	v_mad_co_u64_u32 v[7:8], null, v4, v2, 0
	;; [unrolled: 1-line block ×3, first 2 shown]
	s_delay_alu instid0(VALU_DEP_3) | instskip(SKIP_1) | instid1(VALU_DEP_4)
	v_add_co_u32 v2, vcc_lo, v11, v5
	s_wait_alu 0xfffd
	v_add_co_ci_u32_e32 v5, vcc_lo, 0, v6, vcc_lo
	s_delay_alu instid0(VALU_DEP_2) | instskip(SKIP_1) | instid1(VALU_DEP_2)
	v_add_co_u32 v2, vcc_lo, v2, v7
	s_wait_alu 0xfffd
	v_add_co_ci_u32_e32 v2, vcc_lo, v5, v8, vcc_lo
	s_wait_alu 0xfffd
	v_add_co_ci_u32_e32 v5, vcc_lo, 0, v10, vcc_lo
	s_delay_alu instid0(VALU_DEP_2) | instskip(SKIP_1) | instid1(VALU_DEP_2)
	v_add_co_u32 v2, vcc_lo, v2, v9
	s_wait_alu 0xfffd
	v_add_co_ci_u32_e32 v7, vcc_lo, 0, v5, vcc_lo
	s_delay_alu instid0(VALU_DEP_2) | instskip(SKIP_1) | instid1(VALU_DEP_3)
	v_mul_lo_u32 v8, s29, v2
	v_mad_co_u64_u32 v[5:6], null, s28, v2, 0
	v_mul_lo_u32 v9, s28, v7
	s_delay_alu instid0(VALU_DEP_2) | instskip(NEXT) | instid1(VALU_DEP_2)
	v_sub_co_u32 v5, vcc_lo, v3, v5
	v_add3_u32 v6, v6, v9, v8
	s_delay_alu instid0(VALU_DEP_1) | instskip(SKIP_1) | instid1(VALU_DEP_1)
	v_sub_nc_u32_e32 v8, v4, v6
	s_wait_alu 0xfffd
	v_subrev_co_ci_u32_e64 v8, s2, s29, v8, vcc_lo
	v_add_co_u32 v9, s2, v2, 2
	s_wait_alu 0xf1ff
	v_add_co_ci_u32_e64 v10, s2, 0, v7, s2
	v_sub_co_u32 v11, s2, v5, s28
	v_sub_co_ci_u32_e32 v6, vcc_lo, v4, v6, vcc_lo
	s_wait_alu 0xf1ff
	v_subrev_co_ci_u32_e64 v8, s2, 0, v8, s2
	s_delay_alu instid0(VALU_DEP_3) | instskip(NEXT) | instid1(VALU_DEP_3)
	v_cmp_le_u32_e32 vcc_lo, s28, v11
	v_cmp_eq_u32_e64 s2, s29, v6
	s_wait_alu 0xfffd
	v_cndmask_b32_e64 v11, 0, -1, vcc_lo
	v_cmp_le_u32_e32 vcc_lo, s29, v8
	s_wait_alu 0xfffd
	v_cndmask_b32_e64 v12, 0, -1, vcc_lo
	v_cmp_le_u32_e32 vcc_lo, s28, v5
	;; [unrolled: 3-line block ×3, first 2 shown]
	s_wait_alu 0xfffd
	v_cndmask_b32_e64 v13, 0, -1, vcc_lo
	v_cmp_eq_u32_e32 vcc_lo, s29, v8
	s_wait_alu 0xf1ff
	s_delay_alu instid0(VALU_DEP_2)
	v_cndmask_b32_e64 v5, v13, v5, s2
	s_wait_alu 0xfffd
	v_cndmask_b32_e32 v8, v12, v11, vcc_lo
	v_add_co_u32 v11, vcc_lo, v2, 1
	s_wait_alu 0xfffd
	v_add_co_ci_u32_e32 v12, vcc_lo, 0, v7, vcc_lo
	s_delay_alu instid0(VALU_DEP_3) | instskip(SKIP_1) | instid1(VALU_DEP_2)
	v_cmp_ne_u32_e32 vcc_lo, 0, v8
	s_wait_alu 0xfffd
	v_cndmask_b32_e32 v6, v12, v10, vcc_lo
	v_cndmask_b32_e32 v8, v11, v9, vcc_lo
	v_cmp_ne_u32_e32 vcc_lo, 0, v5
	s_wait_alu 0xfffd
	s_delay_alu instid0(VALU_DEP_2)
	v_dual_cndmask_b32 v27, v7, v6 :: v_dual_cndmask_b32 v26, v2, v8
.LBB0_4:                                ;   in Loop: Header=BB0_2 Depth=1
	s_wait_alu 0xfffe
	s_and_not1_saveexec_b32 s2, s30
	s_cbranch_execz .LBB0_6
; %bb.5:                                ;   in Loop: Header=BB0_2 Depth=1
	v_cvt_f32_u32_e32 v2, s28
	s_sub_co_i32 s30, 0, s28
	v_mov_b32_e32 v27, v1
	s_delay_alu instid0(VALU_DEP_2) | instskip(NEXT) | instid1(TRANS32_DEP_1)
	v_rcp_iflag_f32_e32 v2, v2
	v_mul_f32_e32 v2, 0x4f7ffffe, v2
	s_delay_alu instid0(VALU_DEP_1) | instskip(SKIP_1) | instid1(VALU_DEP_1)
	v_cvt_u32_f32_e32 v2, v2
	s_wait_alu 0xfffe
	v_mul_lo_u32 v5, s30, v2
	s_delay_alu instid0(VALU_DEP_1) | instskip(NEXT) | instid1(VALU_DEP_1)
	v_mul_hi_u32 v5, v2, v5
	v_add_nc_u32_e32 v2, v2, v5
	s_delay_alu instid0(VALU_DEP_1) | instskip(NEXT) | instid1(VALU_DEP_1)
	v_mul_hi_u32 v2, v3, v2
	v_mul_lo_u32 v5, v2, s28
	v_add_nc_u32_e32 v6, 1, v2
	s_delay_alu instid0(VALU_DEP_2) | instskip(NEXT) | instid1(VALU_DEP_1)
	v_sub_nc_u32_e32 v5, v3, v5
	v_subrev_nc_u32_e32 v7, s28, v5
	v_cmp_le_u32_e32 vcc_lo, s28, v5
	s_wait_alu 0xfffd
	s_delay_alu instid0(VALU_DEP_2) | instskip(NEXT) | instid1(VALU_DEP_1)
	v_dual_cndmask_b32 v5, v5, v7 :: v_dual_cndmask_b32 v2, v2, v6
	v_cmp_le_u32_e32 vcc_lo, s28, v5
	s_delay_alu instid0(VALU_DEP_2) | instskip(SKIP_1) | instid1(VALU_DEP_1)
	v_add_nc_u32_e32 v6, 1, v2
	s_wait_alu 0xfffd
	v_cndmask_b32_e32 v26, v2, v6, vcc_lo
.LBB0_6:                                ;   in Loop: Header=BB0_2 Depth=1
	s_wait_alu 0xfffe
	s_or_b32 exec_lo, exec_lo, s2
	v_mul_lo_u32 v2, v27, s28
	s_delay_alu instid0(VALU_DEP_2)
	v_mul_lo_u32 v7, v26, s29
	s_load_b64 s[30:31], s[22:23], 0x0
	v_mad_co_u64_u32 v[5:6], null, v26, s28, 0
	s_load_b64 s[28:29], s[20:21], 0x0
	s_add_nc_u64 s[24:25], s[24:25], 1
	s_add_nc_u64 s[20:21], s[20:21], 8
	s_wait_alu 0xfffe
	v_cmp_ge_u64_e64 s2, s[24:25], s[6:7]
	s_add_nc_u64 s[22:23], s[22:23], 8
	s_add_nc_u64 s[26:27], s[26:27], 8
	v_add3_u32 v2, v6, v7, v2
	v_sub_co_u32 v3, vcc_lo, v3, v5
	s_wait_alu 0xfffd
	s_delay_alu instid0(VALU_DEP_2) | instskip(SKIP_2) | instid1(VALU_DEP_1)
	v_sub_co_ci_u32_e32 v2, vcc_lo, v4, v2, vcc_lo
	s_and_b32 vcc_lo, exec_lo, s2
	s_wait_kmcnt 0x0
	v_mul_lo_u32 v4, s30, v2
	v_mul_lo_u32 v5, s31, v3
	v_mad_co_u64_u32 v[28:29], null, s30, v3, v[28:29]
	v_mul_lo_u32 v2, s28, v2
	v_mul_lo_u32 v6, s29, v3
	v_mad_co_u64_u32 v[20:21], null, s28, v3, v[20:21]
	s_delay_alu instid0(VALU_DEP_4) | instskip(NEXT) | instid1(VALU_DEP_2)
	v_add3_u32 v29, v5, v29, v4
	v_add3_u32 v21, v6, v21, v2
	s_wait_alu 0xfffe
	s_cbranch_vccnz .LBB0_9
; %bb.7:                                ;   in Loop: Header=BB0_2 Depth=1
	v_dual_mov_b32 v3, v26 :: v_dual_mov_b32 v4, v27
	s_branch .LBB0_2
.LBB0_8:
	v_dual_mov_b32 v20, v28 :: v_dual_mov_b32 v21, v29
	s_delay_alu instid0(VALU_DEP_2)
	v_dual_mov_b32 v27, v4 :: v_dual_mov_b32 v26, v3
.LBB0_9:
	s_load_b64 s[0:1], s[0:1], 0x28
	v_mul_hi_u32 v2, 0x5d1745e, v0
	s_lshl_b64 s[6:7], s[6:7], 3
                                        ; implicit-def: $vgpr68
                                        ; implicit-def: $vgpr69
                                        ; implicit-def: $vgpr59
                                        ; implicit-def: $vgpr60
                                        ; implicit-def: $vgpr61
                                        ; implicit-def: $vgpr62
                                        ; implicit-def: $vgpr63
                                        ; implicit-def: $vgpr66
                                        ; implicit-def: $vgpr67
                                        ; implicit-def: $vgpr70
	s_wait_alu 0xfffe
	s_add_nc_u64 s[2:3], s[14:15], s[6:7]
                                        ; implicit-def: $sgpr14
	s_wait_kmcnt 0x0
	v_cmp_gt_u64_e32 vcc_lo, s[0:1], v[26:27]
	v_cmp_le_u64_e64 s0, s[0:1], v[26:27]
	s_delay_alu instid0(VALU_DEP_1)
	s_and_saveexec_b32 s1, s0
	s_wait_alu 0xfffe
	s_xor_b32 s0, exec_lo, s1
	s_cbranch_execz .LBB0_11
; %bb.10:
	v_mul_u32_u24_e32 v1, 44, v2
	s_mov_b32 s14, 0
                                        ; implicit-def: $vgpr2
                                        ; implicit-def: $vgpr28_vgpr29
	s_delay_alu instid0(VALU_DEP_1) | instskip(NEXT) | instid1(VALU_DEP_1)
	v_sub_nc_u32_e32 v68, v0, v1
                                        ; implicit-def: $vgpr0
	v_add_nc_u32_e32 v69, 44, v68
	v_add_nc_u32_e32 v59, 0x58, v68
	;; [unrolled: 1-line block ×9, first 2 shown]
.LBB0_11:
	s_wait_alu 0xfffe
	s_or_saveexec_b32 s1, s0
	s_load_b64 s[2:3], s[2:3], 0x0
	v_dual_mov_b32 v31, s14 :: v_dual_mov_b32 v30, s14
                                        ; implicit-def: $vgpr3
                                        ; implicit-def: $vgpr7
                                        ; implicit-def: $vgpr1
                                        ; implicit-def: $vgpr5
                                        ; implicit-def: $vgpr9
                                        ; implicit-def: $vgpr13
                                        ; implicit-def: $vgpr11
                                        ; implicit-def: $vgpr15
                                        ; implicit-def: $vgpr17
                                        ; implicit-def: $vgpr23
                                        ; implicit-def: $vgpr19
                                        ; implicit-def: $vgpr25
                                        ; implicit-def: $vgpr33
                                        ; implicit-def: $vgpr41
                                        ; implicit-def: $vgpr35
                                        ; implicit-def: $vgpr43
                                        ; implicit-def: $vgpr37
                                        ; implicit-def: $vgpr39
                                        ; implicit-def: $vgpr58
                                        ; implicit-def: $vgpr47
                                        ; implicit-def: $vgpr45
	s_xor_b32 exec_lo, exec_lo, s1
	s_cbranch_execz .LBB0_15
; %bb.12:
	s_add_nc_u64 s[6:7], s[12:13], s[6:7]
	v_mul_u32_u24_e32 v1, 44, v2
	s_load_b64 s[6:7], s[6:7], 0x0
                                        ; implicit-def: $vgpr57
	s_delay_alu instid0(VALU_DEP_1) | instskip(SKIP_1) | instid1(VALU_DEP_2)
	v_sub_nc_u32_e32 v68, v0, v1
	v_lshlrev_b64_e32 v[0:1], 3, v[28:29]
	v_add_nc_u32_e32 v15, 0x1ce, v68
	v_add_nc_u32_e32 v69, 44, v68
	v_mad_co_u64_u32 v[2:3], null, s18, v68, 0
	v_add_nc_u32_e32 v17, 0x1fa, v68
	s_delay_alu instid0(VALU_DEP_4) | instskip(NEXT) | instid1(VALU_DEP_4)
	v_mad_co_u64_u32 v[4:5], null, s18, v15, 0
	v_mad_co_u64_u32 v[6:7], null, s18, v69, 0
	s_delay_alu instid0(VALU_DEP_3)
	v_mad_co_u64_u32 v[10:11], null, s18, v17, 0
	s_wait_kmcnt 0x0
	v_mul_lo_u32 v16, s7, v26
	v_mul_lo_u32 v18, s6, v27
	v_mad_co_u64_u32 v[8:9], null, s6, v26, 0
	v_mad_co_u64_u32 v[12:13], null, s19, v68, v[3:4]
	v_mov_b32_e32 v3, v5
	v_dual_mov_b32 v5, v7 :: v_dual_add_nc_u32 v60, 0x84, v68
	v_mov_b32_e32 v7, v11
	v_add3_u32 v9, v9, v18, v16
	s_delay_alu instid0(VALU_DEP_4) | instskip(SKIP_1) | instid1(VALU_DEP_3)
	v_mad_co_u64_u32 v[15:16], null, s19, v15, v[3:4]
	v_dual_mov_b32 v3, v12 :: v_dual_add_nc_u32 v62, 0xdc, v68
	v_lshlrev_b64_e32 v[8:9], 3, v[8:9]
	v_mad_co_u64_u32 v[11:12], null, s19, v69, v[5:6]
	v_add_nc_u32_e32 v59, 0x58, v68
	v_mov_b32_e32 v5, v15
	v_lshlrev_b64_e32 v[2:3], 3, v[2:3]
	v_mad_co_u64_u32 v[16:17], null, s19, v17, v[7:8]
	v_add_co_u32 v7, s0, s8, v8
	v_mad_co_u64_u32 v[13:14], null, s18, v59, 0
	s_wait_alu 0xf1ff
	v_add_co_ci_u32_e64 v8, s0, s9, v9, s0
	s_delay_alu instid0(VALU_DEP_3) | instskip(SKIP_2) | instid1(VALU_DEP_3)
	v_add_co_u32 v28, s0, v7, v0
	v_mov_b32_e32 v7, v11
	s_wait_alu 0xf1ff
	v_add_co_ci_u32_e64 v29, s0, v8, v1, s0
	v_lshlrev_b64_e32 v[0:1], 3, v[4:5]
	v_mov_b32_e32 v11, v16
	v_lshlrev_b64_e32 v[5:6], 3, v[6:7]
	v_mov_b32_e32 v4, v14
	v_add_nc_u32_e32 v12, 0x226, v68
	v_add_co_u32 v2, s0, v28, v2
	v_lshlrev_b64_e32 v[7:8], 3, v[10:11]
	s_delay_alu instid0(VALU_DEP_4) | instskip(NEXT) | instid1(VALU_DEP_4)
	v_mad_co_u64_u32 v[9:10], null, s19, v59, v[4:5]
	v_mad_co_u64_u32 v[10:11], null, s18, v12, 0
	s_wait_alu 0xf1ff
	v_add_co_ci_u32_e64 v3, s0, v29, v3, s0
	v_add_co_u32 v0, s0, v28, v0
	s_wait_alu 0xf1ff
	v_add_co_ci_u32_e64 v1, s0, v29, v1, s0
	v_add_co_u32 v4, s0, v28, v5
	s_wait_alu 0xf1ff
	v_add_co_ci_u32_e64 v5, s0, v29, v6, s0
	v_mov_b32_e32 v6, v11
	v_add_co_u32 v15, s0, v28, v7
	v_add_nc_u32_e32 v19, 0x252, v68
	s_wait_alu 0xf1ff
	v_add_co_ci_u32_e64 v16, s0, v29, v8, s0
	v_mov_b32_e32 v14, v9
	v_mad_co_u64_u32 v[8:9], null, s18, v60, 0
	v_mad_co_u64_u32 v[11:12], null, s19, v12, v[6:7]
	;; [unrolled: 1-line block ×3, first 2 shown]
	v_add_nc_u32_e32 v61, 0xb0, v68
	s_clause 0x3
	global_load_b64 v[2:3], v[2:3], off
	global_load_b64 v[6:7], v[0:1], off
	;; [unrolled: 1-line block ×4, first 2 shown]
	v_lshlrev_b64_e32 v[12:13], 3, v[13:14]
	v_mad_co_u64_u32 v[14:15], null, s19, v60, v[9:10]
	v_lshlrev_b64_e32 v[10:11], 3, v[10:11]
	v_dual_mov_b32 v9, v18 :: v_dual_add_nc_u32 v66, 0x134, v68
	v_mad_co_u64_u32 v[15:16], null, s18, v61, 0
	v_add_co_u32 v12, s0, v28, v12
	s_delay_alu instid0(VALU_DEP_3)
	v_mad_co_u64_u32 v[18:19], null, s19, v19, v[9:10]
	v_mov_b32_e32 v9, v14
	s_wait_alu 0xf1ff
	v_add_co_ci_u32_e64 v13, s0, v29, v13, s0
	v_mov_b32_e32 v14, v16
	v_add_co_u32 v10, s0, v28, v10
	v_lshlrev_b64_e32 v[8:9], 3, v[8:9]
	s_wait_alu 0xf1ff
	v_add_co_ci_u32_e64 v11, s0, v29, v11, s0
	v_mad_co_u64_u32 v[22:23], null, s19, v61, v[14:15]
	v_add_nc_u32_e32 v14, 0x27e, v68
	s_delay_alu instid0(VALU_DEP_4)
	v_add_co_u32 v23, s0, v28, v8
	s_wait_alu 0xf1ff
	v_add_co_ci_u32_e64 v24, s0, v29, v9, s0
	v_lshlrev_b64_e32 v[8:9], 3, v[17:18]
	v_mad_co_u64_u32 v[17:18], null, s18, v14, 0
	v_mad_co_u64_u32 v[30:31], null, s18, v62, 0
	v_add_nc_u32_e32 v25, 0x2aa, v68
	s_delay_alu instid0(VALU_DEP_4) | instskip(SKIP_2) | instid1(VALU_DEP_4)
	v_add_co_u32 v32, s0, v28, v8
	s_wait_alu 0xf1ff
	v_add_co_ci_u32_e64 v33, s0, v29, v9, s0
	v_dual_mov_b32 v8, v18 :: v_dual_mov_b32 v9, v31
	v_add_nc_u32_e32 v42, 0x302, v68
	v_dual_mov_b32 v16, v22 :: v_dual_add_nc_u32 v63, 0x108, v68
	v_add_nc_u32_e32 v46, 0x32e, v68
	s_delay_alu instid0(VALU_DEP_4)
	v_mad_co_u64_u32 v[18:19], null, s19, v14, v[8:9]
	v_mad_co_u64_u32 v[36:37], null, s19, v62, v[9:10]
	;; [unrolled: 1-line block ×3, first 2 shown]
	v_lshlrev_b64_e32 v[34:35], 3, v[15:16]
	s_clause 0x3
	global_load_b64 v[8:9], v[12:13], off
	global_load_b64 v[12:13], v[10:11], off
	global_load_b64 v[10:11], v[23:24], off
	global_load_b64 v[14:15], v[32:33], off
	v_lshlrev_b64_e32 v[17:18], 3, v[17:18]
	v_mad_co_u64_u32 v[32:33], null, s18, v63, 0
	v_dual_mov_b32 v31, v36 :: v_dual_mov_b32 v16, v38
	v_add_co_u32 v22, s0, v28, v34
	s_wait_alu 0xf1ff
	v_add_co_ci_u32_e64 v23, s0, v29, v35, s0
	s_delay_alu instid0(VALU_DEP_3)
	v_lshlrev_b64_e32 v[30:31], 3, v[30:31]
	v_mad_co_u64_u32 v[24:25], null, s19, v25, v[16:17]
	v_add_co_u32 v34, s0, v28, v17
	v_add_nc_u32_e32 v39, 0x2d6, v68
	s_wait_alu 0xf1ff
	v_add_co_ci_u32_e64 v35, s0, v29, v18, s0
	v_add_co_u32 v18, s0, v28, v30
	s_wait_alu 0xf1ff
	v_add_co_ci_u32_e64 v19, s0, v29, v31, s0
	v_mad_co_u64_u32 v[30:31], null, s18, v39, 0
	v_mov_b32_e32 v38, v24
	v_mov_b32_e32 v16, v33
	v_add_nc_u32_e32 v70, 0x18c, v68
	v_add_nc_u32_e32 v67, 0x160, v68
	;; [unrolled: 1-line block ×3, first 2 shown]
	v_lshlrev_b64_e32 v[24:25], 3, v[37:38]
	v_mad_co_u64_u32 v[16:17], null, s19, v63, v[16:17]
	v_mov_b32_e32 v17, v31
	v_mad_co_u64_u32 v[36:37], null, s18, v66, 0
	s_delay_alu instid0(VALU_DEP_4) | instskip(NEXT) | instid1(VALU_DEP_3)
	v_add_co_u32 v24, s0, v28, v24
	v_mad_co_u64_u32 v[38:39], null, s19, v39, v[17:18]
	s_wait_alu 0xf1ff
	v_add_co_ci_u32_e64 v25, s0, v29, v25, s0
	v_mov_b32_e32 v33, v16
	s_clause 0x3
	global_load_b64 v[16:17], v[22:23], off
	global_load_b64 v[22:23], v[34:35], off
	;; [unrolled: 1-line block ×4, first 2 shown]
	v_mov_b32_e32 v34, v37
	v_mad_co_u64_u32 v[40:41], null, s18, v67, 0
	v_mov_b32_e32 v31, v38
	v_mad_co_u64_u32 v[38:39], null, s18, v42, 0
	s_delay_alu instid0(VALU_DEP_4) | instskip(SKIP_1) | instid1(VALU_DEP_4)
	v_mad_co_u64_u32 v[34:35], null, s19, v66, v[34:35]
	v_lshlrev_b64_e32 v[32:33], 3, v[32:33]
	v_lshlrev_b64_e32 v[30:31], 3, v[30:31]
	v_mad_co_u64_u32 v[44:45], null, s18, v70, 0
	s_mov_b32 s6, exec_lo
	s_delay_alu instid0(VALU_DEP_4) | instskip(NEXT) | instid1(VALU_DEP_4)
	v_dual_mov_b32 v37, v34 :: v_dual_mov_b32 v34, v39
	v_add_co_u32 v32, s0, v28, v32
	s_wait_alu 0xf1ff
	v_add_co_ci_u32_e64 v33, s0, v29, v33, s0
	s_delay_alu instid0(VALU_DEP_3)
	v_mad_co_u64_u32 v[34:35], null, s19, v42, v[34:35]
	v_mad_co_u64_u32 v[42:43], null, s18, v46, 0
	v_lshlrev_b64_e32 v[36:37], 3, v[36:37]
	v_mov_b32_e32 v35, v41
	v_add_co_u32 v30, s0, v28, v30
	v_mov_b32_e32 v39, v34
	s_wait_alu 0xf1ff
	v_add_co_ci_u32_e64 v31, s0, v29, v31, s0
	v_mad_co_u64_u32 v[34:35], null, s19, v67, v[35:36]
	v_mov_b32_e32 v35, v43
	v_lshlrev_b64_e32 v[38:39], 3, v[38:39]
	s_delay_alu instid0(VALU_DEP_2)
	v_mad_co_u64_u32 v[46:47], null, s19, v46, v[35:36]
	v_mad_co_u64_u32 v[47:48], null, s18, v49, 0
	v_add_co_u32 v35, s0, v28, v36
	s_wait_alu 0xf1ff
	v_add_co_ci_u32_e64 v36, s0, v29, v37, s0
	v_mov_b32_e32 v37, v45
	v_mov_b32_e32 v41, v34
	v_dual_mov_b32 v43, v46 :: v_dual_mov_b32 v34, v48
	s_delay_alu instid0(VALU_DEP_3)
	v_mad_co_u64_u32 v[45:46], null, s19, v70, v[37:38]
	v_add_co_u32 v37, s0, v28, v38
	s_wait_alu 0xf1ff
	v_add_co_ci_u32_e64 v38, s0, v29, v39, s0
	v_lshlrev_b64_e32 v[39:40], 3, v[40:41]
	v_mad_co_u64_u32 v[48:49], null, s19, v49, v[34:35]
	v_lshlrev_b64_e32 v[41:42], 3, v[42:43]
	s_delay_alu instid0(VALU_DEP_3) | instskip(SKIP_1) | instid1(VALU_DEP_4)
	v_add_co_u32 v49, s0, v28, v39
	s_wait_alu 0xf1ff
	v_add_co_ci_u32_e64 v50, s0, v29, v40, s0
	v_lshlrev_b64_e32 v[39:40], 3, v[44:45]
	s_delay_alu instid0(VALU_DEP_4) | instskip(SKIP_3) | instid1(VALU_DEP_4)
	v_add_co_u32 v44, s0, v28, v41
	s_wait_alu 0xf1ff
	v_add_co_ci_u32_e64 v45, s0, v29, v42, s0
	v_lshlrev_b64_e32 v[41:42], 3, v[47:48]
	v_add_co_u32 v46, s0, v28, v39
	s_wait_alu 0xf1ff
	v_add_co_ci_u32_e64 v47, s0, v29, v40, s0
	s_delay_alu instid0(VALU_DEP_3)
	v_add_co_u32 v51, s0, v28, v41
	s_wait_alu 0xf1ff
	v_add_co_ci_u32_e64 v52, s0, v29, v42, s0
	s_clause 0x7
	global_load_b64 v[32:33], v[32:33], off
	global_load_b64 v[40:41], v[30:31], off
	;; [unrolled: 1-line block ×8, first 2 shown]
	v_dual_mov_b32 v30, 0 :: v_dual_mov_b32 v31, 0
	v_cmpx_gt_u32_e32 22, v68
	s_cbranch_execz .LBB0_14
; %bb.13:
	v_add_nc_u32_e32 v50, 0x1b8, v68
	s_delay_alu instid0(VALU_DEP_1) | instskip(SKIP_1) | instid1(VALU_DEP_1)
	v_mad_co_u64_u32 v[30:31], null, s18, v50, 0
	s_wait_loadcnt 0x7
	v_mad_co_u64_u32 v[50:51], null, s19, v50, v[31:32]
	s_delay_alu instid0(VALU_DEP_1) | instskip(NEXT) | instid1(VALU_DEP_1)
	v_dual_mov_b32 v31, v50 :: v_dual_add_nc_u32 v52, 0x386, v68
	v_mad_co_u64_u32 v[48:49], null, s18, v52, 0
	s_delay_alu instid0(VALU_DEP_2) | instskip(NEXT) | instid1(VALU_DEP_2)
	v_lshlrev_b64_e32 v[30:31], 3, v[30:31]
	v_mad_co_u64_u32 v[51:52], null, s19, v52, v[49:50]
	s_delay_alu instid0(VALU_DEP_2) | instskip(SKIP_1) | instid1(VALU_DEP_3)
	v_add_co_u32 v30, s0, v28, v30
	s_wait_alu 0xf1ff
	v_add_co_ci_u32_e64 v31, s0, v29, v31, s0
	s_delay_alu instid0(VALU_DEP_3) | instskip(NEXT) | instid1(VALU_DEP_1)
	v_mov_b32_e32 v49, v51
	v_lshlrev_b64_e32 v[48:49], 3, v[48:49]
	s_delay_alu instid0(VALU_DEP_1) | instskip(SKIP_1) | instid1(VALU_DEP_2)
	v_add_co_u32 v28, s0, v28, v48
	s_wait_alu 0xf1ff
	v_add_co_ci_u32_e64 v29, s0, v29, v49, s0
	s_clause 0x1
	global_load_b64 v[30:31], v[30:31], off
	global_load_b64 v[57:58], v[28:29], off
.LBB0_14:
	s_wait_alu 0xfffe
	s_or_b32 exec_lo, exec_lo, s6
.LBB0_15:
	s_delay_alu instid0(SALU_CYCLE_1)
	s_or_b32 exec_lo, exec_lo, s1
	s_wait_loadcnt 0x6
	v_dual_sub_f32 v49, v2, v6 :: v_dual_sub_f32 v76, v32, v40
	s_wait_loadcnt 0x4
	v_dual_sub_f32 v51, v0, v4 :: v_dual_sub_f32 v78, v34, v42
	;; [unrolled: 2-line block ×3, first 2 shown]
	v_dual_sub_f32 v55, v10, v14 :: v_dual_sub_f32 v80, v36, v44
	v_dual_sub_f32 v65, v16, v22 :: v_dual_sub_f32 v72, v18, v24
	v_dual_sub_f32 v29, v30, v57 :: v_dual_add_nc_u32 v14, 0x1b8, v68
	v_fma_f32 v48, v2, 2.0, -v49
	v_fma_f32 v50, v0, 2.0, -v51
	;; [unrolled: 1-line block ×6, first 2 shown]
	v_lshl_add_u32 v6, v68, 3, 0
	v_fma_f32 v28, v30, 2.0, -v29
	v_lshl_add_u32 v22, v69, 3, 0
	v_lshl_add_u32 v2, v59, 3, 0
	;; [unrolled: 1-line block ×9, first 2 shown]
	v_cmp_gt_u32_e64 s0, 22, v68
	v_lshl_add_u32 v24, v14, 3, 0
	v_fma_f32 v77, v34, 2.0, -v78
	v_fma_f32 v79, v36, 2.0, -v80
	v_fma_f32 v81, v38, 2.0, -v82
	v_fma_f32 v71, v18, 2.0, -v72
	ds_store_b64 v6, v[48:49]
	ds_store_b64 v22, v[50:51]
	;; [unrolled: 1-line block ×10, first 2 shown]
	s_and_saveexec_b32 s1, s0
	s_cbranch_execz .LBB0_17
; %bb.16:
	ds_store_b64 v24, v[28:29]
.LBB0_17:
	s_wait_alu 0xfffe
	s_or_b32 exec_lo, exec_lo, s1
	v_lshl_add_u32 v64, v68, 2, 0
	v_lshlrev_b32_e32 v0, 2, v59
	v_lshlrev_b32_e32 v36, 2, v60
	;; [unrolled: 1-line block ×4, first 2 shown]
	v_add_nc_u32_e32 v18, 0x400, v64
	v_lshlrev_b32_e32 v76, 2, v63
	v_lshlrev_b32_e32 v77, 2, v66
	;; [unrolled: 1-line block ×4, first 2 shown]
	global_wb scope:SCOPE_SE
	s_wait_dscnt 0x0
	s_wait_kmcnt 0x0
	s_barrier_signal -1
	s_barrier_wait -1
	global_inv scope:SCOPE_SE
	v_add_nc_u32_e32 v30, 0x800, v64
	ds_load_2addr_b32 v[48:49], v18 offset0:206 offset1:250
	v_add_nc_u32_e32 v18, 0xa00, v64
	v_lshl_add_u32 v65, v69, 2, 0
	v_sub_nc_u32_e32 v32, v2, v0
	v_sub_nc_u32_e32 v34, v8, v36
	;; [unrolled: 1-line block ×7, first 2 shown]
	v_add_nc_u32_e32 v56, 0xc00, v64
	v_sub_nc_u32_e32 v71, v73, v82
	ds_load_2addr_b32 v[50:51], v30 offset0:38 offset1:82
	ds_load_2addr_b32 v[52:53], v30 offset0:126 offset1:170
	;; [unrolled: 1-line block ×3, first 2 shown]
	ds_load_b32 v18, v64
	ds_load_b32 v30, v65
	;; [unrolled: 1-line block ×8, first 2 shown]
	ds_load_2addr_b32 v[56:57], v56 offset0:46 offset1:90
	ds_load_b32 v46, v46
	ds_load_b32 v71, v71
	s_and_saveexec_b32 s1, s0
	s_cbranch_execz .LBB0_19
; %bb.18:
	ds_load_b32 v28, v64 offset:1760
	ds_load_b32 v29, v64 offset:3608
.LBB0_19:
	s_wait_alu 0xfffe
	s_or_b32 exec_lo, exec_lo, s1
	v_sub_f32_e32 v85, v1, v5
	v_sub_f32_e32 v83, v3, v7
	;; [unrolled: 1-line block ×5, first 2 shown]
	v_fma_f32 v84, v1, 2.0, -v85
	v_sub_f32_e32 v1, v31, v58
	v_sub_nc_u32_e32 v80, 0, v0
	v_sub_nc_u32_e32 v79, 0, v36
	;; [unrolled: 1-line block ×8, first 2 shown]
	v_fma_f32 v82, v3, 2.0, -v83
	v_sub_f32_e32 v93, v19, v25
	v_sub_f32_e32 v95, v33, v41
	;; [unrolled: 1-line block ×5, first 2 shown]
	v_fma_f32 v0, v31, 2.0, -v1
	v_fma_f32 v86, v9, 2.0, -v87
	;; [unrolled: 1-line block ×9, first 2 shown]
	global_wb scope:SCOPE_SE
	s_wait_dscnt 0x0
	s_barrier_signal -1
	s_barrier_wait -1
	global_inv scope:SCOPE_SE
	ds_store_b64 v6, v[82:83]
	ds_store_b64 v22, v[84:85]
	;; [unrolled: 1-line block ×10, first 2 shown]
	s_and_saveexec_b32 s1, s0
	s_cbranch_execz .LBB0_21
; %bb.20:
	ds_store_b64 v24, v[0:1]
.LBB0_21:
	s_wait_alu 0xfffe
	s_or_b32 exec_lo, exec_lo, s1
	v_add_nc_u32_e32 v3, 0x400, v64
	v_add_nc_u32_e32 v5, 0x800, v64
	v_add_nc_u32_e32 v11, 0xa00, v64
	v_add_nc_u32_e32 v22, v2, v80
	v_add_nc_u32_e32 v24, v8, v79
	v_add_nc_u32_e32 v58, v4, v72
	v_add_nc_u32_e32 v72, v10, v36
	v_add_nc_u32_e32 v10, 0xc00, v64
	global_wb scope:SCOPE_SE
	s_wait_dscnt 0x0
	s_barrier_signal -1
	s_barrier_wait -1
	global_inv scope:SCOPE_SE
	ds_load_2addr_b32 v[6:7], v3 offset0:206 offset1:250
	ds_load_2addr_b32 v[2:3], v5 offset0:38 offset1:82
	;; [unrolled: 1-line block ×3, first 2 shown]
	v_add_nc_u32_e32 v36, v12, v78
	ds_load_2addr_b32 v[4:5], v11 offset0:86 offset1:130
	v_add_nc_u32_e32 v16, v16, v77
	v_add_nc_u32_e32 v12, v74, v76
	;; [unrolled: 1-line block ×3, first 2 shown]
	ds_load_b32 v45, v64
	ds_load_b32 v15, v65
	ds_load_b32 v35, v22
	ds_load_b32 v39, v24
	ds_load_b32 v41, v58
	ds_load_b32 v43, v72
	ds_load_b32 v17, v36
	ds_load_b32 v19, v16
	ds_load_2addr_b32 v[10:11], v10 offset0:46 offset1:90
	ds_load_b32 v25, v12
	ds_load_b32 v31, v37
	v_lshlrev_b32_e32 v23, 1, v68
	v_lshlrev_b32_e32 v47, 1, v69
	;; [unrolled: 1-line block ×10, first 2 shown]
	s_and_saveexec_b32 s1, s0
	s_cbranch_execz .LBB0_23
; %bb.22:
	ds_load_b32 v0, v64 offset:1760
	ds_load_b32 v1, v64 offset:3608
.LBB0_23:
	s_wait_alu 0xfffe
	s_or_b32 exec_lo, exec_lo, s1
	v_and_b32_e32 v33, 1, v68
	s_delay_alu instid0(VALU_DEP_1)
	v_lshlrev_b32_e32 v12, 3, v33
	v_and_or_b32 v84, 0x3fc, v70, v33
	global_load_b64 v[12:13], v12, s[4:5]
	v_lshlrev_b32_e32 v67, 1, v14
	v_and_or_b32 v14, 0x7c, v23, v33
	global_wb scope:SCOPE_SE
	s_wait_loadcnt_dscnt 0x0
	s_barrier_signal -1
	s_barrier_wait -1
	global_inv scope:SCOPE_SE
	v_lshl_add_u32 v70, v14, 2, 0
	v_mul_f32_e32 v14, v6, v13
	v_and_or_b32 v23, 0xfc, v47, v33
	v_and_or_b32 v79, 0x1fc, v74, v33
	;; [unrolled: 1-line block ×8, first 2 shown]
	v_lshl_add_u32 v73, v23, 2, 0
	v_lshl_add_u32 v75, v79, 2, 0
	;; [unrolled: 1-line block ×3, first 2 shown]
	v_mul_f32_e32 v66, v3, v13
	v_dual_mul_f32 v23, v7, v13 :: v_dual_fmac_f32 v14, v48, v12
	v_lshl_add_u32 v74, v47, 2, 0
	v_lshl_add_u32 v76, v80, 2, 0
	;; [unrolled: 1-line block ×6, first 2 shown]
	v_dual_mul_f32 v47, v2, v13 :: v_dual_fmac_f32 v66, v51, v12
	v_dual_mul_f32 v82, v8, v13 :: v_dual_fmac_f32 v23, v49, v12
	v_mul_f32_e32 v83, v9, v13
	s_delay_alu instid0(VALU_DEP_3) | instskip(NEXT) | instid1(VALU_DEP_3)
	v_dual_mul_f32 v84, v4, v13 :: v_dual_fmac_f32 v47, v50, v12
	v_dual_mul_f32 v85, v5, v13 :: v_dual_fmac_f32 v82, v52, v12
	s_delay_alu instid0(VALU_DEP_3) | instskip(NEXT) | instid1(VALU_DEP_3)
	v_dual_mul_f32 v86, v10, v13 :: v_dual_fmac_f32 v83, v53, v12
	v_dual_mul_f32 v87, v11, v13 :: v_dual_fmac_f32 v84, v54, v12
	s_delay_alu instid0(VALU_DEP_3) | instskip(NEXT) | instid1(VALU_DEP_3)
	v_dual_mul_f32 v88, v1, v13 :: v_dual_fmac_f32 v85, v55, v12
	v_fmac_f32_e32 v86, v56, v12
	s_delay_alu instid0(VALU_DEP_3) | instskip(NEXT) | instid1(VALU_DEP_3)
	v_dual_fmac_f32 v87, v57, v12 :: v_dual_sub_f32 v14, v18, v14
	v_dual_fmac_f32 v88, v29, v12 :: v_dual_sub_f32 v47, v32, v47
	v_sub_f32_e32 v89, v30, v23
	v_dual_sub_f32 v66, v34, v66 :: v_dual_sub_f32 v83, v40, v83
	v_dual_sub_f32 v82, v38, v82 :: v_dual_sub_f32 v85, v44, v85
	;; [unrolled: 1-line block ×4, first 2 shown]
	v_fma_f32 v18, v18, 2.0, -v14
	v_fma_f32 v30, v30, 2.0, -v89
	;; [unrolled: 1-line block ×10, first 2 shown]
	ds_store_2addr_b32 v70, v18, v14 offset1:2
	ds_store_2addr_b32 v73, v30, v89 offset1:2
	;; [unrolled: 1-line block ×10, first 2 shown]
	s_and_saveexec_b32 s1, s0
	s_cbranch_execz .LBB0_25
; %bb.24:
	v_and_or_b32 v14, 0x3fc, v67, v33
	v_fma_f32 v18, v28, 2.0, -v23
	s_delay_alu instid0(VALU_DEP_2)
	v_lshl_add_u32 v14, v14, 2, 0
	ds_store_2addr_b32 v14, v18, v23 offset1:2
.LBB0_25:
	s_wait_alu 0xfffe
	s_or_b32 exec_lo, exec_lo, s1
	v_mul_f32_e32 v30, v51, v13
	v_mul_f32_e32 v14, v48, v13
	;; [unrolled: 1-line block ×3, first 2 shown]
	v_add_nc_u32_e32 v38, 0x800, v64
	v_add_nc_u32_e32 v40, 0xc00, v64
	v_fma_f32 v3, v3, v12, -v30
	v_mul_f32_e32 v18, v49, v13
	v_fma_f32 v6, v6, v12, -v14
	v_mul_f32_e32 v14, v52, v13
	v_fma_f32 v4, v4, v12, -v32
	v_dual_mul_f32 v28, v50, v13 :: v_dual_sub_f32 v3, v39, v3
	v_fma_f32 v7, v7, v12, -v18
	v_mul_f32_e32 v18, v53, v13
	s_delay_alu instid0(VALU_DEP_4) | instskip(NEXT) | instid1(VALU_DEP_4)
	v_sub_f32_e32 v51, v17, v4
	v_fma_f32 v2, v2, v12, -v28
	v_mul_f32_e32 v28, v57, v13
	v_fma_f32 v48, v39, 2.0, -v3
	v_fma_f32 v9, v9, v12, -v18
	v_dual_mul_f32 v18, v56, v13 :: v_dual_add_nc_u32 v39, 0x400, v64
	v_fma_f32 v8, v8, v12, -v14
	v_mul_f32_e32 v14, v55, v13
	v_mul_f32_e32 v13, v29, v13
	v_sub_f32_e32 v29, v45, v6
	v_fma_f32 v6, v10, v12, -v18
	v_fma_f32 v10, v11, v12, -v28
	v_sub_f32_e32 v28, v15, v7
	v_fma_f32 v5, v5, v12, -v14
	v_sub_f32_e32 v30, v41, v8
	v_sub_f32_e32 v32, v43, v9
	v_fma_f32 v1, v1, v12, -v13
	v_fma_f32 v18, v45, 2.0, -v29
	v_fma_f32 v34, v15, 2.0, -v28
	;; [unrolled: 1-line block ×4, first 2 shown]
	v_dual_sub_f32 v52, v19, v5 :: v_dual_sub_f32 v53, v25, v6
	v_sub_f32_e32 v54, v31, v10
	global_wb scope:SCOPE_SE
	s_wait_dscnt 0x0
	s_barrier_signal -1
	s_barrier_wait -1
	global_inv scope:SCOPE_SE
	ds_load_b32 v41, v64
	ds_load_b32 v57, v16
	ds_load_2addr_b32 v[14:15], v38 offset0:104 offset1:148
	ds_load_2addr_b32 v[12:13], v39 offset0:96 offset1:140
	;; [unrolled: 1-line block ×6, first 2 shown]
	ds_load_b32 v46, v22
	ds_load_b32 v45, v24
	;; [unrolled: 1-line block ×6, first 2 shown]
	ds_load_b32 v66, v64 offset:3520
	v_sub_f32_e32 v2, v35, v2
	v_fma_f32 v55, v25, 2.0, -v53
	v_sub_f32_e32 v25, v0, v1
	v_fma_f32 v17, v17, 2.0, -v51
	v_fma_f32 v19, v19, 2.0, -v52
	;; [unrolled: 1-line block ×4, first 2 shown]
	global_wb scope:SCOPE_SE
	s_wait_dscnt 0x0
	s_barrier_signal -1
	s_barrier_wait -1
	global_inv scope:SCOPE_SE
	ds_store_2addr_b32 v70, v18, v29 offset1:2
	ds_store_2addr_b32 v73, v34, v28 offset1:2
	;; [unrolled: 1-line block ×10, first 2 shown]
	s_and_saveexec_b32 s1, s0
	s_cbranch_execz .LBB0_27
; %bb.26:
	v_and_or_b32 v1, 0x3fc, v67, v33
	v_fma_f32 v0, v0, 2.0, -v25
	s_delay_alu instid0(VALU_DEP_2)
	v_lshl_add_u32 v1, v1, 2, 0
	ds_store_2addr_b32 v1, v0, v25 offset1:2
.LBB0_27:
	s_wait_alu 0xfffe
	s_or_b32 exec_lo, exec_lo, s1
	v_and_b32_e32 v71, 3, v68
	global_wb scope:SCOPE_SE
	s_wait_dscnt 0x0
	s_barrier_signal -1
	s_barrier_wait -1
	global_inv scope:SCOPE_SE
	v_lshlrev_b32_e32 v0, 4, v71
	v_lshrrev_b32_e32 v73, 2, v69
	v_lshrrev_b32_e32 v74, 2, v59
	;; [unrolled: 1-line block ×4, first 2 shown]
	global_load_b128 v[0:3], v0, s[4:5] offset:16
	v_and_b32_e32 v75, 0xff, v68
	ds_load_b32 v48, v64
	ds_load_b32 v70, v16
	ds_load_2addr_b32 v[34:35], v38 offset0:104 offset1:148
	ds_load_2addr_b32 v[32:33], v39 offset0:96 offset1:140
	;; [unrolled: 1-line block ×6, first 2 shown]
	ds_load_b32 v52, v24
	ds_load_b32 v51, v58
	;; [unrolled: 1-line block ×6, first 2 shown]
	ds_load_b32 v67, v64 offset:3520
	v_lshrrev_b32_e32 v72, 2, v68
	v_and_b32_e32 v76, 0xff, v69
	v_lshrrev_b32_e32 v62, 2, v62
	v_lshrrev_b32_e32 v63, 2, v63
	v_mul_lo_u32 v73, v73, 12
	v_mul_u32_u24_e32 v72, 12, v72
	v_mul_lo_u32 v74, v74, 12
	v_mul_lo_u32 v60, v60, 12
	;; [unrolled: 1-line block ×5, first 2 shown]
	v_and_b32_e32 v77, 0xff, v59
	v_add_nc_u32_e32 v58, 0x600, v64
	v_add_nc_u32_e32 v55, 0xa00, v64
	;; [unrolled: 1-line block ×3, first 2 shown]
	global_wb scope:SCOPE_SE
	s_wait_loadcnt_dscnt 0x0
	s_barrier_signal -1
	s_barrier_wait -1
	global_inv scope:SCOPE_SE
	v_cmp_gt_u32_e64 s0, 40, v68
	v_mul_f32_e32 v81, v32, v1
	v_mul_f32_e32 v82, v12, v1
	v_mul_lo_u16 v75, 0xab, v75
	v_mul_f32_e32 v83, v35, v3
	v_mul_lo_u16 v76, 0xab, v76
	v_mul_f32_e32 v78, v57, v1
	v_or_b32_e32 v72, v72, v71
	v_lshrrev_b16 v108, 11, v75
	v_or_b32_e32 v73, v73, v71
	v_lshrrev_b16 v109, 11, v76
	v_or_b32_e32 v74, v74, v71
	v_or_b32_e32 v60, v60, v71
	v_mul_lo_u16 v75, v108, 12
	v_or_b32_e32 v61, v61, v71
	v_or_b32_e32 v62, v62, v71
	;; [unrolled: 1-line block ×3, first 2 shown]
	v_lshl_add_u32 v71, v72, 2, 0
	v_sub_nc_u16 v75, v68, v75
	v_mul_lo_u16 v72, v109, 12
	v_dual_mul_f32 v79, v34, v3 :: v_dual_mul_f32 v90, v8, v1
	s_delay_alu instid0(VALU_DEP_3) | instskip(SKIP_3) | instid1(VALU_DEP_4)
	v_dual_mul_f32 v86, v13, v1 :: v_dual_and_b32 v111, 0xff, v75
	v_mul_lo_u16 v77, 0xab, v77
	v_dual_mul_f32 v88, v10, v3 :: v_dual_mul_f32 v93, v29, v1
	v_sub_nc_u16 v72, v69, v72
	v_mul_u32_u24_e32 v75, 6, v111
	s_delay_alu instid0(VALU_DEP_4)
	v_lshrrev_b16 v110, 11, v77
	v_mul_f32_e32 v77, v70, v1
	v_mul_f32_e32 v94, v9, v1
	;; [unrolled: 1-line block ×3, first 2 shown]
	v_lshlrev_b32_e32 v75, 3, v75
	v_dual_mul_f32 v84, v15, v3 :: v_dual_mul_f32 v89, v28, v1
	v_dual_mul_f32 v87, v30, v3 :: v_dual_mul_f32 v98, v4, v1
	v_dual_mul_f32 v102, v67, v3 :: v_dual_fmac_f32 v79, v14, v2
	v_mul_f32_e32 v91, v31, v3
	v_fmac_f32_e32 v93, v9, v0
	v_fma_f32 v9, v29, v0, -v94
	v_dual_mul_f32 v85, v33, v1 :: v_dual_and_b32 v72, 0xff, v72
	v_dual_mul_f32 v92, v11, v3 :: v_dual_mul_f32 v97, v16, v1
	v_dual_mul_f32 v96, v6, v3 :: v_dual_mul_f32 v101, v17, v1
	v_fma_f32 v14, v34, v2, -v80
	v_fmac_f32_e32 v102, v66, v2
	v_fmac_f32_e32 v91, v11, v2
	v_fma_f32 v11, v30, v2, -v88
	v_fmac_f32_e32 v87, v10, v2
	v_fma_f32 v10, v70, v0, -v78
	;; [unrolled: 2-line block ×4, first 2 shown]
	v_dual_add_f32 v84, v51, v9 :: v_dual_fmac_f32 v77, v57, v0
	v_dual_add_f32 v80, v44, v93 :: v_dual_mul_f32 v95, v18, v3
	v_mul_f32_e32 v99, v19, v3
	v_dual_fmac_f32 v85, v13, v0 :: v_dual_mul_f32 v100, v7, v3
	v_mul_f32_e32 v1, v5, v1
	s_delay_alu instid0(VALU_DEP_4)
	v_fmac_f32_e32 v95, v6, v2
	v_fma_f32 v6, v18, v2, -v96
	v_fmac_f32_e32 v89, v8, v0
	v_fma_f32 v8, v28, v0, -v90
	v_fma_f32 v28, v31, v2, -v92
	v_dual_sub_f32 v29, v12, v15 :: v_dual_add_f32 v30, v54, v12
	v_add_f32_e32 v12, v12, v15
	v_add_f32_e32 v32, v46, v85
	s_delay_alu instid0(VALU_DEP_4)
	v_sub_f32_e32 v70, v8, v28
	v_dual_sub_f32 v82, v9, v6 :: v_dual_fmac_f32 v97, v4, v0
	v_sub_f32_e32 v78, v89, v91
	v_fma_f32 v4, v16, v0, -v98
	v_dual_fmac_f32 v101, v5, v0 :: v_dual_add_f32 v16, v48, v10
	v_fmac_f32_e32 v99, v7, v2
	v_sub_f32_e32 v5, v10, v14
	v_add_f32_e32 v10, v10, v14
	v_dual_mul_f32 v3, v66, v3 :: v_dual_add_f32 v18, v47, v81
	v_fma_f32 v13, v33, v0, -v86
	v_fma_f32 v7, v19, v2, -v100
	;; [unrolled: 1-line block ×3, first 2 shown]
	s_delay_alu instid0(VALU_DEP_4)
	v_fma_f32 v1, v67, v2, -v3
	v_add_f32_e32 v3, v77, v79
	v_add_f32_e32 v19, v81, v83
	v_sub_f32_e32 v34, v13, v11
	v_dual_add_f32 v33, v85, v87 :: v_dual_fmac_f32 v48, -0.5, v10
	v_add_f32_e32 v2, v41, v77
	v_dual_sub_f32 v17, v77, v79 :: v_dual_add_f32 v90, v50, v4
	v_sub_f32_e32 v31, v81, v83
	v_add_f32_e32 v35, v53, v13
	v_dual_add_f32 v13, v13, v11 :: v_dual_fmac_f32 v54, -0.5, v12
	v_dual_add_f32 v66, v45, v89 :: v_dual_add_f32 v77, v52, v8
	v_sub_f32_e32 v92, v97, v99
	v_dual_add_f32 v8, v8, v28 :: v_dual_add_f32 v67, v89, v91
	v_dual_add_f32 v81, v93, v95 :: v_dual_add_f32 v86, v43, v97
	v_add_f32_e32 v88, v97, v99
	v_dual_sub_f32 v89, v4, v7 :: v_dual_sub_f32 v98, v101, v102
	v_add_f32_e32 v4, v4, v7
	v_add_f32_e32 v94, v101, v102
	v_dual_sub_f32 v96, v0, v1 :: v_dual_add_f32 v97, v49, v0
	v_add_f32_e32 v10, v18, v83
	v_dual_add_f32 v0, v0, v1 :: v_dual_fmac_f32 v41, -0.5, v3
	v_dual_fmac_f32 v50, -0.5, v4 :: v_dual_sub_f32 v57, v85, v87
	v_dual_fmac_f32 v46, -0.5, v33 :: v_dual_add_f32 v9, v9, v6
	v_add_f32_e32 v2, v2, v79
	v_add_f32_e32 v12, v32, v87
	v_dual_add_f32 v6, v84, v6 :: v_dual_sub_f32 v85, v93, v95
	v_fmac_f32_e32 v44, -0.5, v81
	v_add_f32_e32 v93, v42, v101
	v_fmac_f32_e32 v47, -0.5, v19
	v_dual_add_f32 v11, v35, v11 :: v_dual_fmac_f32 v42, -0.5, v94
	v_fmac_f32_e32 v53, -0.5, v13
	v_dual_add_f32 v13, v66, v91 :: v_dual_fmac_f32 v52, -0.5, v8
	v_fmac_f32_e32 v45, -0.5, v67
	v_fmac_f32_e32 v43, -0.5, v88
	;; [unrolled: 1-line block ×3, first 2 shown]
	v_fmamk_f32 v0, v5, 0xbf5db3d7, v41
	v_fmac_f32_e32 v41, 0x3f5db3d7, v5
	v_lshl_add_u32 v73, v73, 2, 0
	v_dual_add_f32 v3, v16, v14 :: v_dual_add_f32 v14, v30, v15
	v_dual_fmac_f32 v51, -0.5, v9 :: v_dual_fmamk_f32 v18, v34, 0xbf5db3d7, v46
	v_dual_add_f32 v4, v93, v102 :: v_dual_add_f32 v9, v86, v99
	v_fmamk_f32 v16, v29, 0xbf5db3d7, v47
	v_fmac_f32_e32 v47, 0x3f5db3d7, v29
	v_lshl_add_u32 v74, v74, 2, 0
	v_mul_lo_u16 v76, v110, 12
	v_lshl_add_u32 v60, v60, 2, 0
	v_lshl_add_u32 v61, v61, 2, 0
	v_lshl_add_u32 v62, v62, 2, 0
	v_lshl_add_u32 v63, v63, 2, 0
	v_dual_add_f32 v8, v80, v95 :: v_dual_fmamk_f32 v5, v17, 0x3f5db3d7, v48
	v_fmac_f32_e32 v48, 0xbf5db3d7, v17
	v_fmac_f32_e32 v46, 0x3f5db3d7, v34
	v_dual_fmamk_f32 v19, v70, 0xbf5db3d7, v45 :: v_dual_fmamk_f32 v34, v96, 0xbf5db3d7, v42
	v_fmac_f32_e32 v45, 0x3f5db3d7, v70
	v_fmamk_f32 v30, v82, 0xbf5db3d7, v44
	v_fmac_f32_e32 v44, 0x3f5db3d7, v82
	v_fmamk_f32 v32, v89, 0xbf5db3d7, v43
	v_dual_fmac_f32 v43, 0x3f5db3d7, v89 :: v_dual_fmac_f32 v42, 0x3f5db3d7, v96
	ds_store_2addr_b32 v71, v2, v0 offset1:4
	ds_store_b32 v71, v41 offset:32
	ds_store_2addr_b32 v73, v10, v16 offset1:4
	ds_store_b32 v73, v47 offset:32
	;; [unrolled: 2-line block ×7, first 2 shown]
	v_mul_u32_u24_e32 v0, 6, v72
	v_fmamk_f32 v17, v31, 0x3f5db3d7, v54
	v_dual_add_f32 v15, v77, v28 :: v_dual_fmac_f32 v54, 0xbf5db3d7, v31
	v_dual_add_f32 v7, v90, v7 :: v_dual_fmamk_f32 v28, v57, 0x3f5db3d7, v53
	v_add_f32_e32 v1, v97, v1
	v_fmac_f32_e32 v53, 0xbf5db3d7, v57
	v_fmamk_f32 v29, v78, 0x3f5db3d7, v52
	v_fmac_f32_e32 v52, 0xbf5db3d7, v78
	v_fmamk_f32 v31, v85, 0x3f5db3d7, v51
	;; [unrolled: 2-line block ×3, first 2 shown]
	v_fmac_f32_e32 v49, 0xbf5db3d7, v98
	global_wb scope:SCOPE_SE
	s_wait_dscnt 0x0
	s_barrier_signal -1
	s_barrier_wait -1
	global_inv scope:SCOPE_SE
	ds_load_2addr_b32 v[94:95], v64 offset1:176
	ds_load_b32 v57, v37
	ds_load_2addr_b32 v[96:97], v58 offset0:100 offset1:144
	ds_load_2addr_b32 v[18:19], v38 offset0:148 offset1:192
	ds_load_2addr_b32 v[98:99], v55 offset0:108 offset1:152
	ds_load_b32 v70, v65
	ds_load_2addr_b32 v[100:101], v56 offset0:92 offset1:180
	ds_load_2addr_b32 v[102:103], v39 offset0:96 offset1:184
	;; [unrolled: 1-line block ×4, first 2 shown]
	ds_load_b32 v66, v36
	ds_load_b32 v67, v24
	;; [unrolled: 1-line block ×3, first 2 shown]
	v_fmamk_f32 v33, v92, 0x3f5db3d7, v50
	v_fmac_f32_e32 v50, 0xbf5db3d7, v92
	global_wb scope:SCOPE_SE
	s_wait_dscnt 0x0
	s_barrier_signal -1
	s_barrier_wait -1
	global_inv scope:SCOPE_SE
	v_lshlrev_b32_e32 v0, 3, v0
	ds_store_2addr_b32 v71, v3, v5 offset1:4
	ds_store_b32 v71, v48 offset:32
	ds_store_2addr_b32 v73, v14, v17 offset1:4
	ds_store_b32 v73, v54 offset:32
	;; [unrolled: 2-line block ×7, first 2 shown]
	v_sub_nc_u16 v1, v59, v76
	global_wb scope:SCOPE_SE
	s_wait_dscnt 0x0
	s_barrier_signal -1
	s_barrier_wait -1
	global_inv scope:SCOPE_SE
	v_and_b32_e32 v1, 0xff, v1
	s_clause 0x4
	global_load_b128 v[28:31], v75, s[4:5] offset:80
	global_load_b128 v[32:35], v75, s[4:5] offset:96
	global_load_b128 v[44:47], v75, s[4:5] offset:112
	global_load_b128 v[48:51], v0, s[4:5] offset:80
	global_load_b128 v[74:77], v0, s[4:5] offset:96
	v_mul_u32_u24_e32 v2, 6, v1
	v_lshlrev_b32_e32 v4, 2, v111
	v_lshlrev_b32_e32 v5, 2, v72
	s_delay_alu instid0(VALU_DEP_3)
	v_lshlrev_b32_e32 v2, 3, v2
	s_clause 0x3
	global_load_b128 v[78:81], v0, s[4:5] offset:112
	global_load_b128 v[82:85], v2, s[4:5] offset:80
	;; [unrolled: 1-line block ×4, first 2 shown]
	ds_load_b32 v59, v24
	ds_load_b32 v60, v36
	;; [unrolled: 1-line block ×3, first 2 shown]
	v_and_b32_e32 v0, 0xffff, v108
	v_and_b32_e32 v2, 0xffff, v109
	v_and_b32_e32 v3, 0xffff, v110
	s_delay_alu instid0(VALU_DEP_2) | instskip(NEXT) | instid1(VALU_DEP_2)
	v_mul_u32_u24_e32 v2, 0x150, v2
	v_mul_u32_u24_e32 v3, 0x150, v3
	s_delay_alu instid0(VALU_DEP_2)
	v_add3_u32 v2, 0, v2, v5
	s_wait_loadcnt_dscnt 0x801
	v_mul_f32_e32 v41, v60, v31
	v_mul_u32_u24_e32 v0, 0x150, v0
	v_mul_f32_e32 v42, v59, v29
	s_wait_loadcnt_dscnt 0x700
	v_mul_f32_e32 v43, v61, v33
	s_delay_alu instid0(VALU_DEP_3) | instskip(NEXT) | instid1(VALU_DEP_3)
	v_add3_u32 v4, 0, v0, v4
	v_fmac_f32_e32 v42, v67, v28
	s_wait_loadcnt 0x3
	v_dual_mul_f32 v62, v19, v79 :: v_dual_lshlrev_b32 v1, 2, v1
	s_delay_alu instid0(VALU_DEP_1)
	v_add3_u32 v3, 0, v3, v1
	ds_load_2addr_b32 v[36:37], v58 offset0:100 offset1:144
	ds_load_2addr_b32 v[0:1], v64 offset1:176
	ds_load_2addr_b32 v[52:53], v38 offset0:148 offset1:192
	ds_load_2addr_b32 v[108:109], v55 offset0:108 offset1:152
	ds_load_b32 v6, v65
	ds_load_2addr_b32 v[110:111], v56 offset0:92 offset1:180
	ds_load_2addr_b32 v[112:113], v39 offset0:96 offset1:184
	;; [unrolled: 1-line block ×3, first 2 shown]
	ds_load_b32 v5, v22
	ds_load_2addr_b32 v[116:117], v40 offset0:68 offset1:112
	v_mul_f32_e32 v22, v67, v29
	v_mul_f32_e32 v40, v99, v47
	;; [unrolled: 1-line block ×3, first 2 shown]
	global_wb scope:SCOPE_SE
	s_wait_loadcnt_dscnt 0x0
	s_barrier_signal -1
	v_fma_f32 v67, v59, v28, -v22
	s_barrier_wait -1
	v_fma_f32 v71, v60, v30, -v29
	global_inv scope:SCOPE_SE
	v_mul_f32_e32 v54, v37, v35
	v_mul_f32_e32 v14, v1, v49
	v_dual_mul_f32 v55, v52, v45 :: v_dual_mul_f32 v56, v109, v47
	v_mul_f32_e32 v31, v57, v33
	v_mul_f32_e32 v33, v97, v35
	s_delay_alu instid0(VALU_DEP_4)
	v_dual_mul_f32 v35, v18, v45 :: v_dual_fmac_f32 v14, v95, v48
	v_mul_f32_e32 v16, v114, v77
	v_dual_mul_f32 v45, v95, v49 :: v_dual_mul_f32 v8, v110, v83
	v_dual_mul_f32 v15, v113, v75 :: v_dual_mul_f32 v10, v115, v89
	v_mul_f32_e32 v49, v103, v75
	v_fma_f32 v75, v109, v46, -v40
	v_dual_mul_f32 v13, v111, v51 :: v_dual_mul_f32 v12, v117, v93
	v_dual_mul_f32 v24, v116, v81 :: v_dual_mul_f32 v47, v101, v51
	v_mul_f32_e32 v51, v104, v77
	s_delay_alu instid0(VALU_DEP_4)
	v_dual_mul_f32 v63, v106, v81 :: v_dual_sub_f32 v28, v67, v75
	v_fmac_f32_e32 v41, v66, v30
	v_fma_f32 v72, v37, v34, -v33
	v_fma_f32 v73, v52, v44, -v35
	v_fmac_f32_e32 v56, v99, v46
	v_fma_f32 v66, v61, v32, -v31
	v_mul_f32_e32 v17, v53, v79
	s_delay_alu instid0(VALU_DEP_4)
	v_dual_mul_f32 v77, v100, v83 :: v_dual_sub_f32 v30, v71, v73
	v_dual_mul_f32 v79, v102, v85 :: v_dual_fmac_f32 v54, v97, v34
	v_fmac_f32_e32 v16, v104, v76
	v_fma_f32 v59, v1, v48, -v45
	v_fma_f32 v63, v116, v80, -v63
	v_fmac_f32_e32 v10, v105, v88
	v_fmac_f32_e32 v12, v107, v92
	v_fma_f32 v61, v114, v76, -v51
	v_add_f32_e32 v22, v42, v56
	v_fmac_f32_e32 v43, v57, v32
	v_fma_f32 v57, v113, v74, -v49
	v_dual_sub_f32 v32, v72, v66 :: v_dual_fmac_f32 v55, v18, v44
	v_dual_mul_f32 v7, v112, v85 :: v_dual_sub_f32 v34, v59, v63
	s_delay_alu instid0(VALU_DEP_3)
	v_dual_mul_f32 v9, v36, v87 :: v_dual_sub_f32 v46, v61, v57
	v_fma_f32 v62, v53, v78, -v62
	v_fmac_f32_e32 v24, v106, v80
	v_fma_f32 v60, v111, v50, -v47
	v_fma_f32 v18, v110, v82, -v77
	v_mul_f32_e32 v81, v96, v87
	v_add_f32_e32 v76, v32, v30
	v_sub_f32_e32 v77, v32, v30
	v_dual_sub_f32 v32, v28, v32 :: v_dual_add_f32 v29, v41, v55
	v_mul_f32_e32 v87, v107, v93
	v_dual_mul_f32 v83, v105, v89 :: v_dual_sub_f32 v44, v60, v62
	v_fmac_f32_e32 v8, v100, v82
	v_fmac_f32_e32 v15, v103, v74
	v_sub_f32_e32 v74, v29, v22
	v_fma_f32 v40, v117, v92, -v87
	v_dual_add_f32 v80, v46, v44 :: v_dual_add_f32 v31, v43, v54
	v_add_f32_e32 v47, v8, v12
	v_dual_fmac_f32 v13, v101, v50 :: v_dual_sub_f32 v30, v30, v28
	s_delay_alu instid0(VALU_DEP_4)
	v_sub_f32_e32 v48, v18, v40
	v_fma_f32 v1, v36, v86, -v81
	v_fma_f32 v36, v115, v88, -v83
	v_mul_f32_e32 v85, v98, v91
	v_sub_f32_e32 v81, v46, v44
	v_sub_f32_e32 v46, v34, v46
	s_delay_alu instid0(VALU_DEP_4) | instskip(NEXT) | instid1(VALU_DEP_4)
	v_dual_add_f32 v53, v29, v22 :: v_dual_sub_f32 v52, v36, v1
	v_fma_f32 v37, v108, v90, -v85
	v_dual_sub_f32 v22, v22, v31 :: v_dual_sub_f32 v29, v31, v29
	s_delay_alu instid0(VALU_DEP_3)
	v_add_f32_e32 v31, v31, v53
	v_dual_add_f32 v53, v76, v28 :: v_dual_mul_f32 v76, 0x3f08b237, v77
	v_fmac_f32_e32 v17, v19, v78
	v_fma_f32 v19, v112, v84, -v79
	v_mul_f32_e32 v11, v108, v91
	v_dual_add_f32 v33, v14, v24 :: v_dual_sub_f32 v44, v44, v34
	s_delay_alu instid0(VALU_DEP_3) | instskip(NEXT) | instid1(VALU_DEP_3)
	v_dual_fmac_f32 v7, v102, v84 :: v_dual_sub_f32 v50, v19, v37
	v_fmac_f32_e32 v11, v98, v90
	v_add_f32_e32 v45, v15, v16
	v_fmac_f32_e32 v9, v96, v86
	v_mul_f32_e32 v22, 0x3f4a47b2, v22
	v_add_f32_e32 v84, v52, v50
	v_sub_f32_e32 v85, v52, v50
	v_dual_sub_f32 v52, v48, v52 :: v_dual_add_f32 v49, v7, v11
	v_add_f32_e32 v34, v80, v34
	v_sub_f32_e32 v50, v50, v48
	v_add_f32_e32 v48, v84, v48
	v_mul_f32_e32 v28, 0x3d64c772, v29
	v_add_f32_e32 v82, v49, v47
	v_add_f32_e32 v35, v13, v17
	v_fmamk_f32 v29, v29, 0x3d64c772, v22
	v_fma_f32 v22, 0xbf3bfb3b, v74, -v22
	v_fma_f32 v87, 0x3f3bfb3b, v74, -v28
	v_fmamk_f32 v74, v32, 0xbeae86e6, v76
	v_add_f32_e32 v78, v35, v33
	v_sub_f32_e32 v79, v35, v33
	v_sub_f32_e32 v33, v33, v45
	s_delay_alu instid0(VALU_DEP_4) | instskip(SKIP_2) | instid1(VALU_DEP_2)
	v_fmac_f32_e32 v74, 0xbee1c552, v53
	v_mul_f32_e32 v80, 0x3f08b237, v81
	v_mul_f32_e32 v81, 0xbf5ff5aa, v44
	v_fma_f32 v44, 0xbf5ff5aa, v44, -v80
	s_delay_alu instid0(VALU_DEP_1) | instskip(SKIP_1) | instid1(VALU_DEP_1)
	v_fmac_f32_e32 v44, 0xbee1c552, v34
	v_add_f32_e32 v86, v94, v31
	v_fmamk_f32 v31, v31, 0xbf955555, v86
	v_mul_f32_e32 v77, 0xbf5ff5aa, v30
	v_mul_f32_e32 v33, 0x3f4a47b2, v33
	v_fma_f32 v30, 0xbf5ff5aa, v30, -v76
	s_delay_alu instid0(VALU_DEP_4) | instskip(NEXT) | instid1(VALU_DEP_4)
	v_add_f32_e32 v22, v22, v31
	v_fma_f32 v32, 0x3eae86e6, v32, -v77
	v_fmamk_f32 v77, v46, 0xbeae86e6, v80
	v_fma_f32 v46, 0x3eae86e6, v46, -v81
	s_delay_alu instid0(VALU_DEP_2) | instskip(NEXT) | instid1(VALU_DEP_2)
	v_fmac_f32_e32 v77, 0xbee1c552, v34
	v_fmac_f32_e32 v46, 0xbee1c552, v34
	v_dual_fmac_f32 v32, 0xbee1c552, v53 :: v_dual_sub_f32 v35, v45, v35
	v_dual_mul_f32 v84, 0x3f08b237, v85 :: v_dual_add_f32 v51, v9, v10
	v_add_f32_e32 v45, v45, v78
	v_sub_f32_e32 v83, v49, v47
	s_delay_alu instid0(VALU_DEP_4)
	v_mul_f32_e32 v78, 0x3d64c772, v35
	v_dual_mul_f32 v85, 0xbf5ff5aa, v50 :: v_dual_sub_f32 v80, v22, v32
	v_dual_sub_f32 v47, v47, v51 :: v_dual_fmac_f32 v30, 0xbee1c552, v53
	v_sub_f32_e32 v49, v51, v49
	v_fma_f32 v50, 0xbf5ff5aa, v50, -v84
	v_add_f32_e32 v51, v51, v82
	v_fmamk_f32 v35, v35, 0x3d64c772, v33
	v_fma_f32 v33, 0xbf3bfb3b, v79, -v33
	s_delay_alu instid0(VALU_DEP_4) | instskip(NEXT) | instid1(VALU_DEP_4)
	v_dual_add_f32 v53, v32, v22 :: v_dual_fmac_f32 v50, 0xbee1c552, v48
	v_add_f32_e32 v28, v118, v51
	v_mul_f32_e32 v82, 0x3d64c772, v49
	s_delay_alu instid0(VALU_DEP_2) | instskip(SKIP_2) | instid1(VALU_DEP_4)
	v_fmamk_f32 v34, v51, 0xbf955555, v28
	v_add_f32_e32 v76, v70, v45
	v_fma_f32 v70, 0x3f3bfb3b, v79, -v78
	v_fma_f32 v78, 0x3f3bfb3b, v83, -v82
	s_delay_alu instid0(VALU_DEP_3) | instskip(NEXT) | instid1(VALU_DEP_1)
	v_fmamk_f32 v45, v45, 0xbf955555, v76
	v_add_f32_e32 v33, v33, v45
	v_fmamk_f32 v79, v52, 0xbeae86e6, v84
	v_fma_f32 v52, 0x3eae86e6, v52, -v85
	s_delay_alu instid0(VALU_DEP_2) | instskip(NEXT) | instid1(VALU_DEP_2)
	v_dual_add_f32 v82, v46, v33 :: v_dual_fmac_f32 v79, 0xbee1c552, v48
	v_fmac_f32_e32 v52, 0xbee1c552, v48
	v_add_f32_e32 v48, v87, v31
	v_mul_f32_e32 v47, 0x3f4a47b2, v47
	v_add_f32_e32 v29, v29, v31
	s_delay_alu instid0(VALU_DEP_2) | instskip(NEXT) | instid1(VALU_DEP_2)
	v_fmamk_f32 v49, v49, 0x3d64c772, v47
	v_dual_add_f32 v51, v74, v29 :: v_dual_sub_f32 v74, v29, v74
	v_add_f32_e32 v31, v35, v45
	v_add_f32_e32 v35, v70, v45
	s_delay_alu instid0(VALU_DEP_4)
	v_add_f32_e32 v45, v49, v34
	v_add_f32_e32 v49, v78, v34
	v_sub_f32_e32 v78, v48, v30
	v_add_f32_e32 v48, v30, v48
	v_fma_f32 v47, 0xbf3bfb3b, v83, -v47
	v_sub_f32_e32 v22, v45, v79
	v_add_f32_e32 v81, v77, v31
	v_dual_sub_f32 v83, v35, v44 :: v_dual_add_f32 v70, v44, v35
	s_delay_alu instid0(VALU_DEP_4) | instskip(SKIP_2) | instid1(VALU_DEP_3)
	v_add_f32_e32 v47, v47, v34
	v_dual_sub_f32 v34, v33, v46 :: v_dual_sub_f32 v35, v31, v77
	v_add_f32_e32 v29, v79, v45
	v_dual_sub_f32 v33, v49, v50 :: v_dual_add_f32 v32, v52, v47
	v_dual_add_f32 v30, v50, v49 :: v_dual_sub_f32 v31, v47, v52
	ds_store_2addr_b32 v4, v86, v51 offset1:12
	ds_store_2addr_b32 v4, v53, v78 offset0:24 offset1:36
	ds_store_2addr_b32 v4, v48, v80 offset0:48 offset1:60
	ds_store_b32 v4, v74 offset:288
	ds_store_2addr_b32 v2, v76, v81 offset1:12
	ds_store_2addr_b32 v2, v82, v83 offset0:24 offset1:36
	ds_store_2addr_b32 v2, v70, v34 offset0:48 offset1:60
	ds_store_b32 v2, v35 offset:288
	ds_store_2addr_b32 v3, v28, v29 offset1:12
	ds_store_2addr_b32 v3, v32, v33 offset0:24 offset1:36
	ds_store_2addr_b32 v3, v30, v31 offset0:48 offset1:60
	ds_store_b32 v3, v22 offset:288
	global_wb scope:SCOPE_SE
	s_wait_dscnt 0x0
	s_barrier_signal -1
	s_barrier_wait -1
	global_inv scope:SCOPE_SE
	ds_load_2addr_b32 v[44:45], v64 offset1:84
	ds_load_2addr_b32 v[50:51], v64 offset0:168 offset1:252
	ds_load_2addr_b32 v[46:47], v39 offset0:80 offset1:164
	;; [unrolled: 1-line block ×4, first 2 shown]
	ds_load_b32 v74, v64 offset:3360
	s_and_saveexec_b32 s1, s0
	s_cbranch_execz .LBB0_29
; %bb.28:
	v_add_nc_u32_e32 v22, 0x400, v64
	v_add_nc_u32_e32 v23, 0x800, v64
	;; [unrolled: 1-line block ×3, first 2 shown]
	ds_load_b32 v70, v65
	ds_load_2addr_b32 v[34:35], v64 offset0:128 offset1:212
	ds_load_2addr_b32 v[28:29], v22 offset0:40 offset1:124
	ds_load_2addr_b32 v[32:33], v58 offset0:80 offset1:164
	ds_load_2addr_b32 v[30:31], v23 offset0:120 offset1:204
	ds_load_2addr_b32 v[22:23], v38 offset0:32 offset1:116
.LBB0_29:
	s_wait_alu 0xfffe
	s_or_b32 exec_lo, exec_lo, s1
	v_dual_add_f32 v39, v71, v73 :: v_dual_sub_f32 v42, v42, v56
	v_dual_add_f32 v56, v66, v72 :: v_dual_sub_f32 v41, v41, v55
	v_add_f32_e32 v38, v67, v75
	v_sub_f32_e32 v43, v54, v43
	v_sub_f32_e32 v14, v14, v24
	v_dual_sub_f32 v8, v8, v12 :: v_dual_sub_f32 v7, v7, v11
	s_delay_alu instid0(VALU_DEP_4) | instskip(SKIP_2) | instid1(VALU_DEP_3)
	v_add_f32_e32 v54, v39, v38
	v_dual_sub_f32 v55, v39, v38 :: v_dual_sub_f32 v38, v38, v56
	v_dual_sub_f32 v39, v56, v39 :: v_dual_add_f32 v66, v43, v41
	v_add_f32_e32 v54, v56, v54
	v_dual_sub_f32 v56, v43, v41 :: v_dual_sub_f32 v41, v41, v42
	v_sub_f32_e32 v43, v42, v43
	s_delay_alu instid0(VALU_DEP_4) | instskip(SKIP_1) | instid1(VALU_DEP_4)
	v_add_f32_e32 v42, v66, v42
	v_mul_f32_e32 v66, 0x3d64c772, v39
	v_mul_f32_e32 v56, 0x3f08b237, v56
	;; [unrolled: 1-line block ×3, first 2 shown]
	v_sub_f32_e32 v9, v10, v9
	global_wb scope:SCOPE_SE
	s_wait_dscnt 0x0
	s_barrier_signal -1
	v_fma_f32 v41, 0xbf5ff5aa, v41, -v56
	s_barrier_wait -1
	global_inv scope:SCOPE_SE
	v_sub_f32_e32 v13, v13, v17
	v_sub_f32_e32 v15, v16, v15
	v_fmac_f32_e32 v41, 0xbee1c552, v42
	v_mul_f32_e32 v38, 0x3f4a47b2, v38
	v_add_f32_e32 v0, v0, v54
	v_add_f32_e32 v24, v57, v61
	;; [unrolled: 1-line block ×3, first 2 shown]
	s_delay_alu instid0(VALU_DEP_4) | instskip(NEXT) | instid1(VALU_DEP_4)
	v_fmamk_f32 v39, v39, 0x3d64c772, v38
	v_fmamk_f32 v54, v54, 0xbf955555, v0
	v_fma_f32 v38, 0xbf3bfb3b, v55, -v38
	s_delay_alu instid0(VALU_DEP_2) | instskip(SKIP_4) | instid1(VALU_DEP_4)
	v_add_f32_e32 v39, v39, v54
	v_fma_f32 v66, 0x3f3bfb3b, v55, -v66
	v_fmamk_f32 v55, v43, 0xbeae86e6, v56
	v_fma_f32 v43, 0x3eae86e6, v43, -v67
	v_add_f32_e32 v38, v38, v54
	v_add_f32_e32 v56, v66, v54
	s_delay_alu instid0(VALU_DEP_4) | instskip(NEXT) | instid1(VALU_DEP_4)
	v_fmac_f32_e32 v55, 0xbee1c552, v42
	v_fmac_f32_e32 v43, 0xbee1c552, v42
	v_add_f32_e32 v42, v60, v62
	s_delay_alu instid0(VALU_DEP_3) | instskip(NEXT) | instid1(VALU_DEP_3)
	v_sub_f32_e32 v54, v39, v55
	v_dual_sub_f32 v66, v38, v43 :: v_dual_add_f32 v67, v41, v56
	v_dual_sub_f32 v56, v56, v41 :: v_dual_add_f32 v41, v59, v63
	s_delay_alu instid0(VALU_DEP_1) | instskip(SKIP_2) | instid1(VALU_DEP_3)
	v_add_f32_e32 v16, v42, v41
	v_dual_sub_f32 v17, v42, v41 :: v_dual_sub_f32 v42, v24, v42
	v_sub_f32_e32 v41, v41, v24
	v_add_f32_e32 v16, v24, v16
	v_sub_f32_e32 v24, v15, v13
	s_delay_alu instid0(VALU_DEP_3) | instskip(SKIP_1) | instid1(VALU_DEP_3)
	v_mul_f32_e32 v41, 0x3f4a47b2, v41
	v_sub_f32_e32 v13, v13, v14
	v_dual_sub_f32 v15, v14, v15 :: v_dual_mul_f32 v24, 0x3f08b237, v24
	v_add_f32_e32 v14, v57, v14
	v_mul_f32_e32 v57, 0x3d64c772, v42
	s_delay_alu instid0(VALU_DEP_4) | instskip(NEXT) | instid1(VALU_DEP_4)
	v_dual_mul_f32 v59, 0xbf5ff5aa, v13 :: v_dual_add_f32 v6, v6, v16
	v_fma_f32 v13, 0xbf5ff5aa, v13, -v24
	v_fmamk_f32 v42, v42, 0x3d64c772, v41
	s_delay_alu instid0(VALU_DEP_4)
	v_fma_f32 v57, 0x3f3bfb3b, v17, -v57
	v_fma_f32 v17, 0xbf3bfb3b, v17, -v41
	v_fmamk_f32 v41, v15, 0xbeae86e6, v24
	v_fma_f32 v15, 0x3eae86e6, v15, -v59
	v_fmac_f32_e32 v13, 0xbee1c552, v14
	v_fmamk_f32 v16, v16, 0xbf955555, v6
	s_delay_alu instid0(VALU_DEP_4) | instskip(NEXT) | instid1(VALU_DEP_4)
	v_fmac_f32_e32 v41, 0xbee1c552, v14
	v_fmac_f32_e32 v15, 0xbee1c552, v14
	v_add_f32_e32 v14, v43, v38
	s_delay_alu instid0(VALU_DEP_4) | instskip(SKIP_1) | instid1(VALU_DEP_2)
	v_add_f32_e32 v24, v42, v16
	v_add_f32_e32 v42, v57, v16
	v_add_f32_e32 v43, v41, v24
	s_delay_alu instid0(VALU_DEP_2) | instskip(SKIP_2) | instid1(VALU_DEP_2)
	v_add_f32_e32 v59, v13, v42
	v_dual_add_f32 v16, v17, v16 :: v_dual_add_f32 v17, v55, v39
	v_sub_f32_e32 v55, v24, v41
	v_sub_f32_e32 v57, v16, v15
	;; [unrolled: 1-line block ×3, first 2 shown]
	v_dual_add_f32 v13, v18, v40 :: v_dual_add_f32 v18, v19, v37
	v_add_f32_e32 v1, v1, v36
	v_add_f32_e32 v42, v15, v16
	s_delay_alu instid0(VALU_DEP_3) | instskip(SKIP_1) | instid1(VALU_DEP_4)
	v_add_f32_e32 v10, v18, v13
	v_sub_f32_e32 v11, v18, v13
	v_sub_f32_e32 v12, v13, v1
	;; [unrolled: 1-line block ×3, first 2 shown]
	s_delay_alu instid0(VALU_DEP_4) | instskip(SKIP_1) | instid1(VALU_DEP_1)
	v_add_f32_e32 v1, v1, v10
	v_sub_f32_e32 v10, v9, v7
	v_mul_f32_e32 v10, 0x3f08b237, v10
	v_dual_add_f32 v18, v9, v7 :: v_dual_sub_f32 v9, v8, v9
	s_delay_alu instid0(VALU_DEP_4) | instskip(SKIP_1) | instid1(VALU_DEP_3)
	v_dual_sub_f32 v7, v7, v8 :: v_dual_add_f32 v36, v5, v1
	v_mul_f32_e32 v5, 0x3f4a47b2, v12
	v_add_f32_e32 v8, v18, v8
	v_mul_f32_e32 v12, 0x3d64c772, v13
	s_delay_alu instid0(VALU_DEP_4) | instskip(NEXT) | instid1(VALU_DEP_2)
	v_fmamk_f32 v1, v1, 0xbf955555, v36
	v_fma_f32 v12, 0x3f3bfb3b, v11, -v12
	v_fmamk_f32 v13, v13, 0x3d64c772, v5
	v_fma_f32 v5, 0xbf3bfb3b, v11, -v5
	v_mul_f32_e32 v18, 0xbf5ff5aa, v7
	v_fma_f32 v7, 0xbf5ff5aa, v7, -v10
	s_delay_alu instid0(VALU_DEP_1) | instskip(NEXT) | instid1(VALU_DEP_1)
	v_dual_add_f32 v12, v12, v1 :: v_dual_fmac_f32 v7, 0xbee1c552, v8
	v_dual_fmamk_f32 v11, v9, 0xbeae86e6, v10 :: v_dual_sub_f32 v38, v12, v7
	s_delay_alu instid0(VALU_DEP_1) | instskip(SKIP_2) | instid1(VALU_DEP_3)
	v_dual_add_f32 v10, v13, v1 :: v_dual_fmac_f32 v11, 0xbee1c552, v8
	v_add_f32_e32 v1, v5, v1
	v_fma_f32 v9, 0x3eae86e6, v9, -v18
	v_dual_sub_f32 v37, v10, v11 :: v_dual_add_f32 v24, v11, v10
	s_delay_alu instid0(VALU_DEP_2) | instskip(NEXT) | instid1(VALU_DEP_1)
	v_fmac_f32_e32 v9, 0xbee1c552, v8
	v_dual_sub_f32 v40, v1, v9 :: v_dual_add_f32 v41, v7, v12
	v_add_f32_e32 v39, v9, v1
	ds_store_2addr_b32 v4, v0, v54 offset1:12
	ds_store_2addr_b32 v4, v66, v67 offset0:24 offset1:36
	ds_store_2addr_b32 v4, v56, v14 offset0:48 offset1:60
	ds_store_b32 v4, v17 offset:288
	ds_store_2addr_b32 v2, v6, v55 offset1:12
	ds_store_2addr_b32 v2, v57, v59 offset0:24 offset1:36
	ds_store_2addr_b32 v2, v71, v42 offset0:48 offset1:60
	ds_store_b32 v2, v43 offset:288
	;; [unrolled: 4-line block ×3, first 2 shown]
	v_add_nc_u32_e32 v0, 0x400, v64
	v_add_nc_u32_e32 v1, 0x800, v64
	global_wb scope:SCOPE_SE
	s_wait_dscnt 0x0
	s_barrier_signal -1
	s_barrier_wait -1
	global_inv scope:SCOPE_SE
	ds_load_2addr_b32 v[54:55], v64 offset1:84
	ds_load_2addr_b32 v[60:61], v64 offset0:168 offset1:252
	ds_load_2addr_b32 v[56:57], v0 offset0:80 offset1:164
	;; [unrolled: 1-line block ×4, first 2 shown]
	ds_load_b32 v75, v64 offset:3360
	s_and_saveexec_b32 s1, s0
	s_cbranch_execz .LBB0_31
; %bb.30:
	v_add_nc_u32_e32 v2, 0x600, v64
	v_add_nc_u32_e32 v3, 0xc00, v64
	ds_load_b32 v71, v65
	ds_load_2addr_b32 v[42:43], v64 offset0:128 offset1:212
	ds_load_2addr_b32 v[36:37], v0 offset0:40 offset1:124
	;; [unrolled: 1-line block ×5, first 2 shown]
.LBB0_31:
	s_wait_alu 0xfffe
	s_or_b32 exec_lo, exec_lo, s1
	s_and_saveexec_b32 s1, vcc_lo
	s_cbranch_execz .LBB0_34
; %bb.32:
	v_lshrrev_b32_e32 v64, 2, v68
	v_mul_lo_u32 v65, s3, v26
	v_mul_lo_u32 v66, s2, v27
	v_mad_co_u64_u32 v[26:27], null, s2, v26, 0
	s_delay_alu instid0(VALU_DEP_4) | instskip(SKIP_2) | instid1(VALU_DEP_4)
	v_mul_hi_u32 v64, 0x30c30c31, v64
	v_mul_u32_u24_e32 v0, 10, v68
	v_lshlrev_b64_e32 v[72:73], 3, v[20:21]
	v_add3_u32 v27, v27, v66, v65
	s_delay_alu instid0(VALU_DEP_4) | instskip(NEXT) | instid1(VALU_DEP_2)
	v_lshrrev_b32_e32 v64, 2, v64
	v_lshlrev_b64_e32 v[26:27], 3, v[26:27]
	s_delay_alu instid0(VALU_DEP_2) | instskip(NEXT) | instid1(VALU_DEP_2)
	v_mul_lo_u32 v64, 0x54, v64
	v_add_co_u32 v84, vcc_lo, s10, v26
	s_wait_alu 0xfffd
	s_delay_alu instid0(VALU_DEP_3) | instskip(NEXT) | instid1(VALU_DEP_3)
	v_add_co_ci_u32_e32 v85, vcc_lo, s11, v27, vcc_lo
	v_sub_nc_u32_e32 v76, v68, v64
	s_delay_alu instid0(VALU_DEP_3) | instskip(SKIP_1) | instid1(VALU_DEP_3)
	v_add_co_u32 v72, vcc_lo, v84, v72
	s_wait_alu 0xfffd
	v_add_co_ci_u32_e32 v73, vcc_lo, v85, v73, vcc_lo
	s_delay_alu instid0(VALU_DEP_3) | instskip(NEXT) | instid1(VALU_DEP_1)
	v_mad_co_u64_u32 v[79:80], null, s16, v76, 0
	v_dual_mov_b32 v64, v80 :: v_dual_add_nc_u32 v81, 0x54, v76
	s_delay_alu instid0(VALU_DEP_1) | instskip(SKIP_1) | instid1(VALU_DEP_3)
	v_mad_co_u64_u32 v[66:67], null, s16, v81, 0
	v_lshlrev_b32_e32 v0, 3, v0
	v_mad_co_u64_u32 v[26:27], null, s17, v76, v[64:65]
	v_add_nc_u32_e32 v83, 0xa8, v76
	s_delay_alu instid0(VALU_DEP_4)
	v_mov_b32_e32 v27, v67
	s_clause 0x4
	global_load_b128 v[12:15], v0, s[4:5] offset:656
	global_load_b128 v[16:19], v0, s[4:5] offset:720
	global_load_b128 v[4:7], v0, s[4:5] offset:672
	global_load_b128 v[8:11], v0, s[4:5] offset:704
	global_load_b128 v[0:3], v0, s[4:5] offset:688
	v_dual_mov_b32 v80, v26 :: v_dual_add_nc_u32 v77, 0xfc, v76
	v_mad_co_u64_u32 v[20:21], null, s16, v83, 0
	v_mad_co_u64_u32 v[81:82], null, s17, v81, v[27:28]
	v_add_nc_u32_e32 v78, 0x150, v76
	s_delay_alu instid0(VALU_DEP_4) | instskip(NEXT) | instid1(VALU_DEP_4)
	v_lshlrev_b64_e32 v[79:80], 3, v[79:80]
	v_mad_co_u64_u32 v[82:83], null, s17, v83, v[21:22]
	s_delay_alu instid0(VALU_DEP_4) | instskip(NEXT) | instid1(VALU_DEP_4)
	v_mov_b32_e32 v67, v81
	v_mad_co_u64_u32 v[26:27], null, s16, v78, 0
	s_delay_alu instid0(VALU_DEP_4) | instskip(NEXT) | instid1(VALU_DEP_3)
	v_add_co_u32 v79, vcc_lo, v72, v79
	v_lshlrev_b64_e32 v[66:67], 3, v[66:67]
	v_mov_b32_e32 v21, v82
	s_wait_alu 0xfffd
	v_add_co_ci_u32_e32 v80, vcc_lo, v73, v80, vcc_lo
	s_wait_loadcnt_dscnt 0x405
	v_mul_f32_e32 v81, v55, v13
	s_wait_loadcnt_dscnt 0x300
	v_mul_f32_e32 v82, v75, v19
	s_wait_loadcnt 0x1
	v_dual_mul_f32 v19, v74, v19 :: v_dual_mul_f32 v88, v59, v9
	v_mul_f32_e32 v86, v62, v11
	v_mul_f32_e32 v11, v52, v11
	s_wait_loadcnt 0x0
	v_dual_mul_f32 v13, v45, v13 :: v_dual_mul_f32 v90, v58, v3
	v_mul_f32_e32 v85, v61, v5
	v_fmac_f32_e32 v88, v49, v8
	v_fma_f32 v11, v62, v10, -v11
	v_mul_f32_e32 v5, v51, v5
	v_dual_mul_f32 v83, v60, v15 :: v_dual_fmac_f32 v82, v74, v18
	v_mul_f32_e32 v84, v63, v17
	v_dual_mul_f32 v17, v53, v17 :: v_dual_fmac_f32 v86, v52, v10
	v_dual_mul_f32 v15, v50, v15 :: v_dual_fmac_f32 v90, v48, v2
	s_delay_alu instid0(VALU_DEP_3)
	v_fmac_f32_e32 v84, v53, v16
	v_fmac_f32_e32 v85, v51, v4
	v_fma_f32 v4, v61, v4, -v5
	v_mul_f32_e32 v89, v57, v1
	v_fma_f32 v18, v75, v18, -v19
	v_fmac_f32_e32 v83, v50, v14
	v_fma_f32 v14, v60, v14, -v15
	v_fmac_f32_e32 v81, v45, v12
	v_fma_f32 v12, v55, v12, -v13
	v_mul_f32_e32 v9, v49, v9
	v_fma_f32 v13, v63, v16, -v17
	v_mul_f32_e32 v87, v56, v7
	v_dual_sub_f32 v50, v4, v11 :: v_dual_fmac_f32 v89, v47, v0
	v_mul_f32_e32 v7, v46, v7
	v_fma_f32 v5, v59, v8, -v9
	v_add_f32_e32 v8, v14, v13
	v_fmac_f32_e32 v87, v46, v6
	v_mul_f32_e32 v1, v47, v1
	v_fma_f32 v6, v56, v6, -v7
	v_mul_f32_e32 v3, v48, v3
	v_sub_f32_e32 v46, v12, v18
	v_dual_sub_f32 v48, v14, v13 :: v_dual_sub_f32 v7, v83, v84
	v_mul_f32_e32 v74, 0xbf7d64f0, v50
	v_dual_sub_f32 v52, v6, v5 :: v_dual_sub_f32 v9, v85, v86
	s_delay_alu instid0(VALU_DEP_3) | instskip(NEXT) | instid1(VALU_DEP_4)
	v_mul_f32_e32 v96, 0xbf4178ce, v48
	v_dual_sub_f32 v15, v87, v88 :: v_dual_mul_f32 v100, 0x3e903f40, v7
	v_add_f32_e32 v16, v6, v5
	v_fma_f32 v2, v58, v2, -v3
	v_dual_add_f32 v53, v44, v81 :: v_dual_mul_f32 v114, 0x3f7d64f0, v48
	v_mul_f32_e32 v62, 0xbf0a6770, v46
	v_dual_sub_f32 v17, v89, v90 :: v_dual_mul_f32 v98, 0x3f7d64f0, v52
	v_dual_add_f32 v3, v12, v18 :: v_dual_add_f32 v12, v54, v12
	v_fma_f32 v0, v57, v0, -v1
	s_delay_alu instid0(VALU_DEP_3) | instskip(SKIP_1) | instid1(VALU_DEP_3)
	v_dual_mul_f32 v94, 0x3f0a6770, v17 :: v_dual_sub_f32 v1, v81, v82
	v_mul_f32_e32 v92, 0x3e903f40, v9
	v_dual_mul_f32 v58, 0xbf68dda4, v7 :: v_dual_add_f32 v19, v0, v2
	s_delay_alu instid0(VALU_DEP_3)
	v_dual_mul_f32 v102, 0xbf0a6770, v15 :: v_dual_mul_f32 v57, 0xbf0a6770, v1
	v_dual_add_f32 v12, v12, v14 :: v_dual_mul_f32 v59, 0xbf7d64f0, v9
	v_add_f32_e32 v14, v53, v83
	v_dual_add_f32 v10, v4, v11 :: v_dual_add_f32 v45, v81, v82
	v_dual_mul_f32 v108, 0xbf4178ce, v1 :: v_dual_add_f32 v47, v83, v84
	v_mul_f32_e32 v104, 0xbf7d64f0, v46
	v_mul_f32_e32 v60, 0xbf4178ce, v15
	;; [unrolled: 1-line block ×3, first 2 shown]
	v_dual_mul_f32 v81, 0xbf68dda4, v1 :: v_dual_add_f32 v4, v12, v4
	v_mul_f32_e32 v111, 0xbe903f40, v15
	v_dual_fmamk_f32 v119, v3, 0x3f575c64, v57 :: v_dual_fmamk_f32 v138, v16, 0x3f575c64, v102
	v_dual_mul_f32 v95, 0xbf68dda4, v46 :: v_dual_add_f32 v12, v14, v85
	v_mul_f32_e32 v113, 0xbf4178ce, v46
	v_dual_mul_f32 v46, 0xbe903f40, v46 :: v_dual_add_f32 v51, v87, v88
	v_mul_f32_e32 v106, 0x3f68dda4, v50
	v_dual_add_f32 v49, v85, v86 :: v_dual_mul_f32 v110, 0xbf0a6770, v9
	s_delay_alu instid0(VALU_DEP_3) | instskip(SKIP_4) | instid1(VALU_DEP_4)
	v_fma_f32 v150, 0xbf75a155, v45, -v46
	v_mul_f32_e32 v105, 0x3e903f40, v48
	v_dual_fmac_f32 v46, 0xbf75a155, v45 :: v_dual_sub_f32 v55, v0, v2
	v_mul_f32_e32 v112, 0x3f68dda4, v17
	v_mul_f32_e32 v101, 0x3f68dda4, v9
	v_fma_f32 v141, 0xbf75a155, v47, -v105
	v_fmac_f32_e32 v105, 0xbf75a155, v47
	v_dual_mul_f32 v107, 0xbf0a6770, v52 :: v_dual_add_f32 v46, v44, v46
	v_dual_mul_f32 v9, 0xbf4178ce, v9 :: v_dual_add_f32 v4, v4, v6
	v_fma_f32 v124, 0x3f575c64, v45, -v62
	v_fma_f32 v140, 0xbe11bafb, v45, -v104
	v_mul_f32_e32 v99, 0xbf7d64f0, v1
	v_fmamk_f32 v143, v3, 0xbf27a4f4, v108
	v_fma_f32 v108, 0xbf27a4f4, v3, -v108
	v_mul_f32_e32 v91, 0xbf4178ce, v7
	v_fmac_f32_e32 v62, 0x3f575c64, v45
	v_fma_f32 v153, 0x3f575c64, v51, -v107
	v_fmac_f32_e32 v107, 0x3f575c64, v51
	v_dual_mul_f32 v1, 0xbe903f40, v1 :: v_dual_add_f32 v56, v89, v90
	v_dual_mul_f32 v61, 0xbe903f40, v17 :: v_dual_mul_f32 v116, 0xbe903f40, v52
	v_mul_f32_e32 v93, 0x3f7d64f0, v15
	v_dual_mul_f32 v103, 0xbf4178ce, v17 :: v_dual_mul_f32 v118, 0xbf4178ce, v55
	v_mul_f32_e32 v48, 0x3f0a6770, v48
	v_dual_fmamk_f32 v120, v8, 0x3ed4b147, v58 :: v_dual_fmamk_f32 v127, v3, 0x3ed4b147, v81
	v_dual_fmamk_f32 v121, v10, 0xbe11bafb, v59 :: v_dual_fmac_f32 v104, 0xbe11bafb, v45
	v_mul_f32_e32 v109, 0x3f7d64f0, v7
	v_mul_f32_e32 v7, 0x3f0a6770, v7
	v_fma_f32 v125, 0x3ed4b147, v47, -v63
	v_mul_f32_e32 v15, 0x3f68dda4, v15
	v_fmamk_f32 v135, v3, 0xbe11bafb, v99
	v_fmamk_f32 v148, v3, 0xbf75a155, v1
	v_fma_f32 v1, 0xbf75a155, v3, -v1
	v_fma_f32 v99, 0xbe11bafb, v3, -v99
	;; [unrolled: 1-line block ×4, first 2 shown]
	v_add_f32_e32 v108, v54, v108
	v_dual_add_f32 v1, v54, v1 :: v_dual_fmamk_f32 v128, v8, 0xbf27a4f4, v91
	v_dual_mul_f32 v17, 0xbf7d64f0, v17 :: v_dual_add_f32 v6, v12, v87
	v_fma_f32 v57, 0xbf27a4f4, v45, -v113
	v_fmac_f32_e32 v113, 0xbf27a4f4, v45
	v_mul_f32_e32 v75, 0xbf4178ce, v52
	v_mul_f32_e32 v115, 0xbf0a6770, v50
	;; [unrolled: 1-line block ×3, first 2 shown]
	v_dual_fmamk_f32 v122, v16, 0xbf27a4f4, v60 :: v_dual_fmamk_f32 v139, v19, 0xbf27a4f4, v103
	v_dual_fmamk_f32 v123, v19, 0xbf75a155, v61 :: v_dual_fmamk_f32 v136, v8, 0xbf75a155, v100
	;; [unrolled: 1-line block ×4, first 2 shown]
	v_mul_f32_e32 v117, 0xbf7d64f0, v55
	v_fma_f32 v132, 0x3ed4b147, v45, -v95
	v_mul_f32_e32 v97, 0x3e903f40, v50
	v_mul_f32_e32 v50, 0xbf4178ce, v50
	v_fma_f32 v133, 0xbf27a4f4, v47, -v96
	v_mul_f32_e32 v53, 0xbe903f40, v55
	v_fmamk_f32 v137, v10, 0x3ed4b147, v101
	v_fma_f32 v142, 0x3ed4b147, v49, -v106
	v_fmac_f32_e32 v106, 0x3ed4b147, v49
	v_fma_f32 v149, 0xbe11bafb, v47, -v114
	v_fma_f32 v7, 0x3f575c64, v8, -v7
	;; [unrolled: 1-line block ×10, first 2 shown]
	v_fmac_f32_e32 v114, 0xbe11bafb, v47
	v_fmamk_f32 v130, v16, 0xbe11bafb, v93
	v_fma_f32 v93, 0xbe11bafb, v16, -v93
	v_fmac_f32_e32 v96, 0xbf27a4f4, v47
	v_dual_fmac_f32 v63, 0x3ed4b147, v47 :: v_dual_add_f32 v0, v4, v0
	v_fma_f32 v85, 0xbf27a4f4, v56, -v118
	v_dual_fmac_f32 v118, 0xbf27a4f4, v56 :: v_dual_add_f32 v99, v54, v99
	v_add_f32_e32 v113, v44, v113
	v_fmamk_f32 v145, v10, 0x3f575c64, v110
	v_fma_f32 v110, 0x3f575c64, v10, -v110
	v_add_f32_e32 v104, v44, v104
	v_fmamk_f32 v144, v8, 0xbe11bafb, v109
	v_mul_f32_e32 v83, 0x3f0a6770, v55
	v_fmamk_f32 v147, v19, 0x3ed4b147, v112
	v_fma_f32 v109, 0xbe11bafb, v8, -v109
	v_mul_f32_e32 v55, 0x3f68dda4, v55
	v_fma_f32 v8, 0x3ed4b147, v8, -v58
	v_fmamk_f32 v58, v10, 0xbf27a4f4, v9
	v_fma_f32 v9, 0xbf27a4f4, v10, -v9
	v_fma_f32 v10, 0xbe11bafb, v10, -v59
	v_dual_fmamk_f32 v59, v16, 0x3ed4b147, v15 :: v_dual_add_f32 v4, v6, v89
	v_fma_f32 v15, 0x3ed4b147, v16, -v15
	v_fma_f32 v16, 0xbf27a4f4, v16, -v60
	v_fmamk_f32 v60, v19, 0xbe11bafb, v17
	v_fma_f32 v17, 0xbe11bafb, v19, -v17
	v_fma_f32 v112, 0x3ed4b147, v19, -v112
	;; [unrolled: 1-line block ×4, first 2 shown]
	v_fmac_f32_e32 v48, 0x3f575c64, v47
	v_fma_f32 v126, 0xbe11bafb, v49, -v74
	v_fma_f32 v134, 0xbf75a155, v49, -v97
	v_fmac_f32_e32 v95, 0x3ed4b147, v45
	v_fma_f32 v45, 0x3f575c64, v49, -v115
	v_fma_f32 v151, 0xbf75a155, v51, -v116
	;; [unrolled: 1-line block ×3, first 2 shown]
	v_fmac_f32_e32 v50, 0xbf27a4f4, v49
	v_fmac_f32_e32 v115, 0x3f575c64, v49
	v_dual_fmac_f32 v97, 0xbf75a155, v49 :: v_dual_fmac_f32 v116, 0xbf75a155, v51
	v_fmac_f32_e32 v74, 0xbe11bafb, v49
	v_fma_f32 v49, 0x3ed4b147, v51, -v52
	v_fmac_f32_e32 v52, 0x3ed4b147, v51
	v_fma_f32 v154, 0xbe11bafb, v51, -v98
	v_dual_fmac_f32 v98, 0xbe11bafb, v51 :: v_dual_add_f32 v81, v54, v81
	v_fma_f32 v155, 0xbf27a4f4, v51, -v75
	v_fmac_f32_e32 v75, 0xbf27a4f4, v51
	v_fma_f32 v14, 0xbe11bafb, v56, -v117
	v_fmac_f32_e32 v117, 0xbe11bafb, v56
	;; [unrolled: 2-line block ×4, first 2 shown]
	v_dual_add_f32 v99, v99, v100 :: v_dual_add_f32 v0, v0, v2
	v_add_f32_e32 v1, v1, v7
	v_dual_add_f32 v7, v46, v48 :: v_dual_add_f32 v46, v108, v109
	v_fma_f32 v51, 0x3ed4b147, v56, -v55
	v_dual_fmac_f32 v55, 0x3ed4b147, v56 :: v_dual_add_f32 v56, v54, v119
	v_add_f32_e32 v119, v54, v127
	v_add_f32_e32 v127, v54, v135
	;; [unrolled: 1-line block ×5, first 2 shown]
	v_dual_add_f32 v56, v119, v128 :: v_dual_add_f32 v3, v54, v3
	v_add_f32_e32 v54, v44, v124
	v_add_f32_e32 v124, v44, v132
	;; [unrolled: 1-line block ×5, first 2 shown]
	v_dual_add_f32 v54, v54, v125 :: v_dual_add_f32 v87, v127, v136
	v_add_f32_e32 v95, v44, v95
	v_add_f32_e32 v44, v44, v62
	;; [unrolled: 1-line block ×4, first 2 shown]
	v_dual_add_f32 v100, v104, v105 :: v_dual_add_f32 v81, v81, v91
	v_add_f32_e32 v2, v4, v90
	v_add_f32_e32 v119, v132, v141
	v_dual_add_f32 v3, v3, v8 :: v_dual_add_f32 v8, v44, v63
	v_add_f32_e32 v6, v12, v121
	v_add_f32_e32 v12, v54, v126
	v_dual_add_f32 v54, v62, v134 :: v_dual_add_f32 v57, v57, v149
	s_delay_alu instid0(VALU_DEP_4) | instskip(SKIP_2) | instid1(VALU_DEP_4)
	v_dual_add_f32 v1, v1, v9 :: v_dual_add_f32 v8, v8, v74
	v_add_f32_e32 v9, v46, v110
	v_add_f32_e32 v7, v7, v50
	v_dual_add_f32 v50, v100, v106 :: v_dual_add_f32 v45, v57, v45
	v_dual_add_f32 v57, v124, v58 :: v_dual_add_f32 v58, v81, v92
	v_add_f32_e32 v62, v119, v142
	v_add_f32_e32 v48, v113, v114
	v_dual_add_f32 v120, v135, v144 :: v_dual_add_f32 v61, v140, v61
	v_add_f32_e32 v4, v6, v122
	v_add_f32_e32 v44, v56, v129
	s_delay_alu instid0(VALU_DEP_4) | instskip(SKIP_4) | instid1(VALU_DEP_3)
	v_add_f32_e32 v46, v48, v115
	v_add_f32_e32 v56, v87, v137
	v_dual_add_f32 v91, v95, v96 :: v_dual_add_f32 v6, v12, v155
	v_dual_add_f32 v63, v120, v145 :: v_dual_add_f32 v12, v54, v154
	;; [unrolled: 1-line block ×3, first 2 shown]
	v_add_f32_e32 v61, v91, v97
	v_dual_add_f32 v3, v3, v10 :: v_dual_add_f32 v50, v50, v107
	v_add_f32_e32 v10, v44, v130
	v_add_f32_e32 v44, v56, v138
	;; [unrolled: 1-line block ×3, first 2 shown]
	v_dual_add_f32 v56, v63, v146 :: v_dual_add_f32 v57, v57, v59
	v_dual_add_f32 v47, v47, v49 :: v_dual_add_f32 v48, v48, v102
	v_add_f32_e32 v59, v61, v98
	v_add_f32_e32 v63, v88, v2
	;; [unrolled: 1-line block ×4, first 2 shown]
	v_dual_add_f32 v46, v46, v116 :: v_dual_add_f32 v15, v1, v15
	v_add_f32_e32 v2, v12, v156
	s_delay_alu instid0(VALU_DEP_3) | instskip(SKIP_3) | instid1(VALU_DEP_4)
	v_dual_add_f32 v1, v4, v123 :: v_dual_add_f32 v4, v11, v16
	v_dual_add_f32 v45, v45, v151 :: v_dual_add_f32 v58, v58, v93
	;; [unrolled: 1-line block ×4, first 2 shown]
	v_add_f32_e32 v4, v13, v4
	v_add_f32_e32 v0, v6, v157
	v_dual_add_f32 v3, v10, v131 :: v_dual_add_f32 v12, v15, v17
	v_add_f32_e32 v10, v57, v60
	v_add_f32_e32 v16, v86, v63
	v_dual_add_f32 v5, v54, v85 :: v_dual_add_f32 v14, v52, v112
	v_dual_add_f32 v7, v45, v51 :: v_dual_add_f32 v18, v18, v4
	v_dual_add_f32 v13, v46, v55 :: v_dual_mov_b32 v4, v27
	v_add_f32_e32 v8, v56, v147
	v_add_f32_e32 v17, v84, v16
	v_add_nc_u32_e32 v51, 0x1a4, v76
	v_mad_co_u64_u32 v[64:65], null, s16, v77, 0
	v_dual_add_f32 v6, v44, v139 :: v_dual_add_f32 v11, v49, v117
	v_add_f32_e32 v16, v48, v103
	v_mad_co_u64_u32 v[48:49], null, s17, v78, v[4:5]
	v_dual_add_f32 v15, v50, v118 :: v_dual_add_f32 v44, v59, v83
	v_add_f32_e32 v17, v82, v17
	v_mad_co_u64_u32 v[49:50], null, s16, v51, 0
	v_dual_add_f32 v47, v61, v19 :: v_dual_add_f32 v46, v62, v53
	global_store_b64 v[79:80], v[17:18], off
	v_mad_co_u64_u32 v[17:18], null, s17, v77, v[65:66]
	v_add_co_u32 v18, vcc_lo, v72, v66
	s_wait_alu 0xfffd
	v_add_co_ci_u32_e32 v19, vcc_lo, v73, v67, vcc_lo
	v_lshlrev_b64_e32 v[20:21], 3, v[20:21]
	v_dual_mov_b32 v4, v50 :: v_dual_mov_b32 v27, v48
	global_store_b64 v[18:19], v[46:47], off
	v_add_f32_e32 v45, v58, v94
	v_mad_co_u64_u32 v[46:47], null, s17, v51, v[4:5]
	v_add_co_u32 v19, vcc_lo, v72, v20
	v_mov_b32_e32 v65, v17
	s_wait_alu 0xfffd
	v_add_co_ci_u32_e32 v20, vcc_lo, v73, v21, vcc_lo
	s_delay_alu instid0(VALU_DEP_4) | instskip(NEXT) | instid1(VALU_DEP_3)
	v_dual_mov_b32 v50, v46 :: v_dual_add_nc_u32 v21, 0x1f8, v76
	v_lshlrev_b64_e32 v[17:18], 3, v[64:65]
	global_store_b64 v[19:20], v[44:45], off
	v_add_nc_u32_e32 v20, 0x24c, v76
	v_mad_co_u64_u32 v[47:48], null, s16, v21, 0
	v_add_nc_u32_e32 v44, 0x2f4, v76
	v_add_co_u32 v17, vcc_lo, v72, v17
	s_wait_alu 0xfffd
	v_add_co_ci_u32_e32 v18, vcc_lo, v73, v18, vcc_lo
	s_delay_alu instid0(VALU_DEP_4) | instskip(SKIP_3) | instid1(VALU_DEP_2)
	v_dual_mov_b32 v4, v48 :: v_dual_add_nc_u32 v45, 0x348, v76
	global_store_b64 v[17:18], v[15:16], off
	v_mad_co_u64_u32 v[15:16], null, s17, v21, v[4:5]
	v_mad_co_u64_u32 v[16:17], null, s16, v20, 0
	v_mov_b32_e32 v48, v15
	v_lshlrev_b64_e32 v[26:27], 3, v[26:27]
	s_delay_alu instid0(VALU_DEP_3) | instskip(NEXT) | instid1(VALU_DEP_2)
	v_mov_b32_e32 v4, v17
	v_add_co_u32 v26, vcc_lo, v72, v26
	s_wait_alu 0xfffd
	s_delay_alu instid0(VALU_DEP_3) | instskip(SKIP_3) | instid1(VALU_DEP_2)
	v_add_co_ci_u32_e32 v27, vcc_lo, v73, v27, vcc_lo
	global_store_b64 v[26:27], v[13:14], off
	v_lshlrev_b64_e32 v[13:14], 3, v[49:50]
	v_mad_co_u64_u32 v[26:27], null, s16, v45, 0
	v_add_co_u32 v13, vcc_lo, v72, v13
	s_wait_alu 0xfffd
	s_delay_alu instid0(VALU_DEP_3) | instskip(SKIP_4) | instid1(VALU_DEP_2)
	v_add_co_ci_u32_e32 v14, vcc_lo, v73, v14, vcc_lo
	global_store_b64 v[13:14], v[11:12], off
	v_mad_co_u64_u32 v[11:12], null, s16, v44, 0
	v_add_nc_u32_e32 v21, 0x2a0, v76
	v_lshlrev_b64_e32 v[13:14], 3, v[47:48]
	v_mad_co_u64_u32 v[18:19], null, s16, v21, 0
	s_delay_alu instid0(VALU_DEP_1) | instskip(SKIP_3) | instid1(VALU_DEP_4)
	v_mov_b32_e32 v15, v19
	v_mad_co_u64_u32 v[19:20], null, s17, v20, v[4:5]
	v_mov_b32_e32 v4, v12
	v_add_co_u32 v12, vcc_lo, v72, v13
	v_mad_co_u64_u32 v[20:21], null, s17, v21, v[15:16]
	s_wait_alu 0xfffd
	v_add_co_ci_u32_e32 v13, vcc_lo, v73, v14, vcc_lo
	v_mad_co_u64_u32 v[14:15], null, s17, v44, v[4:5]
	v_dual_mov_b32 v4, v27 :: v_dual_mov_b32 v17, v19
	global_store_b64 v[12:13], v[9:10], off
	v_mov_b32_e32 v19, v20
	v_lshlrev_b64_e32 v[9:10], 3, v[16:17]
	v_mov_b32_e32 v12, v14
	v_mad_co_u64_u32 v[15:16], null, s17, v45, v[4:5]
	v_add_nc_u32_e32 v4, 44, v68
	v_lshlrev_b64_e32 v[16:17], 3, v[18:19]
	v_add_co_u32 v9, vcc_lo, v72, v9
	v_lshlrev_b64_e32 v[11:12], 3, v[11:12]
	s_wait_alu 0xfffd
	v_add_co_ci_u32_e32 v10, vcc_lo, v73, v10, vcc_lo
	v_mov_b32_e32 v27, v15
	v_add_co_u32 v13, vcc_lo, v72, v16
	s_wait_alu 0xfffd
	v_add_co_ci_u32_e32 v14, vcc_lo, v73, v17, vcc_lo
	s_delay_alu instid0(VALU_DEP_3) | instskip(SKIP_3) | instid1(VALU_DEP_3)
	v_lshlrev_b64_e32 v[15:16], 3, v[26:27]
	v_add_co_u32 v11, vcc_lo, v72, v11
	s_wait_alu 0xfffd
	v_add_co_ci_u32_e32 v12, vcc_lo, v73, v12, vcc_lo
	v_add_co_u32 v15, vcc_lo, v72, v15
	s_wait_alu 0xfffd
	v_add_co_ci_u32_e32 v16, vcc_lo, v73, v16, vcc_lo
	v_cmp_gt_u32_e32 vcc_lo, 0x54, v4
	s_clause 0x3
	global_store_b64 v[9:10], v[7:8], off
	global_store_b64 v[13:14], v[5:6], off
	;; [unrolled: 1-line block ×4, first 2 shown]
	s_and_b32 exec_lo, exec_lo, vcc_lo
	s_cbranch_execz .LBB0_34
; %bb.33:
	v_subrev_nc_u32_e32 v0, 40, v68
	v_dual_mov_b32 v1, 0 :: v_dual_add_nc_u32 v56, 0x80, v68
	v_mad_co_u64_u32 v[26:27], null, s16, v4, 0
	s_delay_alu instid0(VALU_DEP_3) | instskip(SKIP_1) | instid1(VALU_DEP_4)
	v_cndmask_b32_e64 v0, v0, v69, s0
	v_add_nc_u32_e32 v58, 0x128, v68
	v_mad_co_u64_u32 v[44:45], null, s16, v56, 0
	v_add_nc_u32_e32 v57, 0xd4, v68
	s_delay_alu instid0(VALU_DEP_4) | instskip(SKIP_2) | instid1(VALU_DEP_3)
	v_mul_i32_i24_e32 v0, 10, v0
	v_mov_b32_e32 v21, v27
	v_mad_co_u64_u32 v[48:49], null, s16, v58, 0
	v_lshlrev_b64_e32 v[0:1], 3, v[0:1]
	s_delay_alu instid0(VALU_DEP_3) | instskip(SKIP_2) | instid1(VALU_DEP_4)
	v_mad_co_u64_u32 v[54:55], null, s17, v4, v[21:22]
	v_mov_b32_e32 v4, v45
	v_mad_co_u64_u32 v[46:47], null, s16, v57, 0
	v_add_co_u32 v0, vcc_lo, s4, v0
	s_wait_alu 0xfffd
	v_add_co_ci_u32_e32 v1, vcc_lo, s5, v1, vcc_lo
	v_add_nc_u32_e32 v60, 0x1d0, v68
	s_clause 0x4
	global_load_b128 v[5:8], v[0:1], off offset:656
	global_load_b128 v[9:12], v[0:1], off offset:672
	;; [unrolled: 1-line block ×5, first 2 shown]
	v_mov_b32_e32 v21, v47
	v_add_nc_u32_e32 v59, 0x17c, v68
	v_mad_co_u64_u32 v[52:53], null, s16, v60, 0
	v_mov_b32_e32 v27, v49
	s_delay_alu instid0(VALU_DEP_2)
	v_mov_b32_e32 v47, v53
	s_wait_loadcnt 0x4
	v_mad_co_u64_u32 v[55:56], null, s17, v56, v[4:5]
	v_mul_f32_e32 v4, v42, v6
	v_mad_co_u64_u32 v[50:51], null, s16, v59, 0
	v_mad_co_u64_u32 v[56:57], null, s17, v57, v[21:22]
	v_mul_f32_e32 v6, v34, v6
	v_mad_co_u64_u32 v[57:58], null, s17, v58, v[27:28]
	s_wait_loadcnt 0x3
	v_mul_f32_e32 v53, v36, v10
	v_dual_mov_b32 v45, v51 :: v_dual_mul_f32 v10, v28, v10
	v_mul_f32_e32 v21, v43, v8
	v_dual_mul_f32 v8, v35, v8 :: v_dual_mov_b32 v27, v54
	v_mul_f32_e32 v54, v37, v12
	s_delay_alu instid0(VALU_DEP_4)
	v_mad_co_u64_u32 v[58:59], null, s17, v59, v[45:46]
	v_mad_co_u64_u32 v[59:60], null, s17, v60, v[47:48]
	v_dual_mov_b32 v45, v55 :: v_dual_mul_f32 v12, v29, v12
	s_wait_loadcnt 0x2
	v_dual_mov_b32 v47, v56 :: v_dual_mul_f32 v56, v41, v16
	v_mov_b32_e32 v49, v57
	v_dual_mov_b32 v51, v58 :: v_dual_mul_f32 v16, v33, v16
	v_mul_f32_e32 v55, v40, v14
	v_mul_f32_e32 v14, v32, v14
	s_wait_loadcnt 0x0
	v_dual_mul_f32 v57, v38, v18 :: v_dual_mul_f32 v60, v24, v1
	v_mul_f32_e32 v18, v30, v18
	v_dual_mul_f32 v58, v39, v20 :: v_dual_mul_f32 v1, v22, v1
	v_fmac_f32_e32 v54, v29, v11
	v_dual_mul_f32 v61, v25, v3 :: v_dual_fmac_f32 v4, v34, v5
	v_dual_mul_f32 v3, v23, v3 :: v_dual_fmac_f32 v60, v22, v0
	v_fma_f32 v5, v42, v5, -v6
	v_mul_f32_e32 v20, v31, v20
	v_fmac_f32_e32 v21, v35, v7
	v_fma_f32 v6, v43, v7, -v8
	v_dual_fmac_f32 v53, v28, v9 :: v_dual_fmac_f32 v56, v33, v15
	v_fma_f32 v7, v36, v9, -v10
	v_fma_f32 v8, v37, v11, -v12
	v_dual_fmac_f32 v55, v32, v13 :: v_dual_fmac_f32 v58, v31, v19
	v_fma_f32 v9, v40, v13, -v14
	v_fma_f32 v11, v38, v17, -v18
	;; [unrolled: 1-line block ×3, first 2 shown]
	v_add_f32_e32 v0, v70, v4
	v_dual_fmac_f32 v57, v30, v17 :: v_dual_add_f32 v14, v21, v60
	v_fma_f32 v17, v25, v2, -v3
	v_dual_add_f32 v1, v71, v5 :: v_dual_sub_f32 v22, v53, v58
	v_fma_f32 v10, v41, v15, -v16
	v_fma_f32 v12, v39, v19, -v20
	v_dual_fmac_f32 v61, v23, v2 :: v_dual_sub_f32 v16, v21, v60
	v_add_f32_e32 v3, v5, v17
	v_dual_sub_f32 v5, v5, v17 :: v_dual_add_f32 v30, v55, v56
	s_delay_alu instid0(VALU_DEP_3)
	v_dual_add_f32 v1, v1, v6 :: v_dual_add_f32 v2, v4, v61
	v_dual_add_f32 v19, v53, v58 :: v_dual_sub_f32 v4, v4, v61
	v_sub_f32_e32 v23, v7, v12
	v_dual_add_f32 v15, v6, v13 :: v_dual_sub_f32 v32, v55, v56
	v_dual_sub_f32 v18, v6, v13 :: v_dual_add_f32 v25, v8, v11
	v_add_f32_e32 v20, v7, v12
	v_dual_sub_f32 v28, v54, v57 :: v_dual_add_f32 v31, v9, v10
	v_dual_sub_f32 v33, v9, v10 :: v_dual_add_f32 v0, v0, v21
	v_mul_f32_e32 v6, 0xbf0a6770, v5
	s_delay_alu instid0(VALU_DEP_4)
	v_dual_mul_f32 v21, 0x3f575c64, v3 :: v_dual_mul_f32 v78, 0x3f575c64, v20
	v_dual_mul_f32 v34, 0xbf68dda4, v5 :: v_dual_add_f32 v1, v1, v7
	v_dual_mul_f32 v37, 0xbe11bafb, v3 :: v_dual_mul_f32 v82, 0xbe11bafb, v25
	v_dual_add_f32 v24, v54, v57 :: v_dual_sub_f32 v29, v8, v11
	v_dual_mul_f32 v35, 0x3ed4b147, v3 :: v_dual_mul_f32 v76, 0x3ed4b147, v20
	v_mul_f32_e32 v36, 0xbf7d64f0, v5
	v_mul_f32_e32 v38, 0xbf4178ce, v5
	;; [unrolled: 1-line block ×3, first 2 shown]
	v_dual_mul_f32 v3, 0xbf75a155, v3 :: v_dual_mul_f32 v74, 0xbf75a155, v20
	v_mul_f32_e32 v40, 0xbf68dda4, v18
	v_dual_mul_f32 v41, 0x3ed4b147, v15 :: v_dual_add_f32 v0, v0, v53
	v_dual_mul_f32 v42, 0xbf4178ce, v18 :: v_dual_mul_f32 v79, 0xbf4178ce, v29
	v_dual_mul_f32 v63, 0xbf75a155, v15 :: v_dual_mul_f32 v86, 0xbf75a155, v25
	v_mul_f32_e32 v5, 0xbe903f40, v5
	v_dual_mul_f32 v90, 0x3f575c64, v31 :: v_dual_fmamk_f32 v7, v2, 0x3f575c64, v6
	v_dual_fmamk_f32 v53, v4, 0x3f0a6770, v21 :: v_dual_fmamk_f32 v116, v22, 0x3f0a6770, v78
	v_fma_f32 v6, 0x3f575c64, v2, -v6
	s_delay_alu instid0(VALU_DEP_3)
	v_dual_fmac_f32 v21, 0xbf0a6770, v4 :: v_dual_fmamk_f32 v128, v32, 0xbf0a6770, v90
	v_dual_fmamk_f32 v98, v4, 0x3f7d64f0, v37 :: v_dual_add_f32 v1, v1, v8
	v_fmamk_f32 v95, v2, 0x3ed4b147, v34
	v_fma_f32 v34, 0x3ed4b147, v2, -v34
	v_dual_mul_f32 v43, 0xbf27a4f4, v15 :: v_dual_mul_f32 v80, 0xbf27a4f4, v25
	v_dual_mul_f32 v62, 0x3e903f40, v18 :: v_dual_mul_f32 v69, 0x3e903f40, v23
	v_dual_mul_f32 v64, 0x3f7d64f0, v18 :: v_dual_mul_f32 v81, 0x3f7d64f0, v29
	v_dual_mul_f32 v18, 0x3f0a6770, v18 :: v_dual_mul_f32 v89, 0x3f0a6770, v33
	v_mul_f32_e32 v66, 0xbf7d64f0, v23
	v_dual_mul_f32 v67, 0xbe11bafb, v20 :: v_dual_add_f32 v0, v0, v54
	v_dual_mul_f32 v75, 0x3f68dda4, v23 :: v_dual_fmamk_f32 v96, v4, 0x3f68dda4, v35
	v_mul_f32_e32 v20, 0xbf27a4f4, v20
	v_dual_mul_f32 v83, 0xbf0a6770, v29 :: v_dual_fmac_f32 v78, 0xbf0a6770, v22
	v_mul_f32_e32 v84, 0x3f575c64, v25
	v_dual_mul_f32 v85, 0xbe903f40, v29 :: v_dual_fmamk_f32 v112, v22, 0xbe903f40, v74
	v_mul_f32_e32 v29, 0x3f68dda4, v29
	v_dual_mul_f32 v25, 0x3ed4b147, v25 :: v_dual_mul_f32 v94, 0x3ed4b147, v31
	v_mul_f32_e32 v87, 0xbe903f40, v33
	v_mul_f32_e32 v91, 0xbf4178ce, v33
	;; [unrolled: 1-line block ×8, first 2 shown]
	v_dual_mul_f32 v92, 0xbf27a4f4, v31 :: v_dual_fmamk_f32 v99, v2, 0xbf27a4f4, v38
	v_fmac_f32_e32 v35, 0xbf68dda4, v4
	v_fmac_f32_e32 v37, 0xbf7d64f0, v4
	v_dual_fmamk_f32 v100, v4, 0x3f4178ce, v39 :: v_dual_add_f32 v7, v70, v7
	v_fmamk_f32 v97, v2, 0xbe11bafb, v36
	v_fma_f32 v36, 0xbe11bafb, v2, -v36
	v_fma_f32 v38, 0xbf27a4f4, v2, -v38
	v_dual_fmac_f32 v39, 0xbf4178ce, v4 :: v_dual_add_f32 v6, v70, v6
	v_dual_fmamk_f32 v102, v4, 0x3e903f40, v3 :: v_dual_add_f32 v21, v71, v21
	v_fmamk_f32 v103, v14, 0xbf27a4f4, v42
	v_fma_f32 v42, 0xbf27a4f4, v14, -v42
	v_fmamk_f32 v106, v16, 0xbe903f40, v63
	v_dual_mul_f32 v88, 0xbf75a155, v31 :: v_dual_fmamk_f32 v101, v2, 0xbf75a155, v5
	v_dual_mul_f32 v31, 0xbe11bafb, v31 :: v_dual_add_f32 v8, v71, v53
	v_fma_f32 v2, 0xbf75a155, v2, -v5
	v_dual_fmamk_f32 v5, v16, 0x3f68dda4, v41 :: v_dual_add_f32 v34, v70, v34
	v_dual_fmac_f32 v41, 0xbf68dda4, v16 :: v_dual_fmamk_f32 v114, v22, 0xbf68dda4, v76
	v_dual_add_f32 v54, v71, v98 :: v_dual_fmac_f32 v3, 0xbe903f40, v4
	v_dual_fmamk_f32 v4, v14, 0x3ed4b147, v40 :: v_dual_fmamk_f32 v113, v19, 0x3ed4b147, v75
	v_fma_f32 v40, 0x3ed4b147, v14, -v40
	v_fmamk_f32 v104, v16, 0x3f4178ce, v43
	v_dual_fmac_f32 v43, 0xbf4178ce, v16 :: v_dual_add_f32 v38, v70, v38
	v_dual_fmamk_f32 v105, v14, 0xbf75a155, v62 :: v_dual_add_f32 v98, v71, v102
	v_fma_f32 v62, 0xbf75a155, v14, -v62
	v_dual_fmac_f32 v63, 0x3e903f40, v16 :: v_dual_fmac_f32 v74, 0x3e903f40, v22
	v_dual_fmamk_f32 v107, v14, 0xbe11bafb, v64 :: v_dual_add_f32 v0, v0, v55
	v_dual_fmamk_f32 v108, v16, 0xbf7d64f0, v65 :: v_dual_add_f32 v35, v71, v35
	v_fma_f32 v64, 0xbe11bafb, v14, -v64
	v_dual_fmac_f32 v65, 0x3f7d64f0, v16 :: v_dual_add_f32 v2, v70, v2
	v_dual_fmamk_f32 v109, v14, 0x3f575c64, v18 :: v_dual_add_f32 v4, v4, v7
	v_fmamk_f32 v110, v16, 0xbf0a6770, v15
	v_fma_f32 v14, 0x3f575c64, v14, -v18
	v_dual_fmac_f32 v15, 0x3f0a6770, v16 :: v_dual_fmamk_f32 v122, v28, 0x3f0a6770, v84
	v_fmamk_f32 v16, v19, 0xbe11bafb, v66
	v_dual_fmamk_f32 v18, v22, 0x3f7d64f0, v67 :: v_dual_add_f32 v37, v71, v37
	v_fma_f32 v66, 0xbe11bafb, v19, -v66
	v_dual_fmac_f32 v67, 0xbf7d64f0, v22 :: v_dual_fmamk_f32 v120, v28, 0xbf7d64f0, v82
	v_dual_fmamk_f32 v111, v19, 0xbf75a155, v69 :: v_dual_add_f32 v36, v70, v36
	v_fma_f32 v69, 0xbf75a155, v19, -v69
	v_fmac_f32_e32 v76, 0x3f68dda4, v22
	v_dual_fmamk_f32 v115, v19, 0x3f575c64, v77 :: v_dual_add_f32 v6, v40, v6
	v_dual_fmamk_f32 v118, v22, 0x3f4178ce, v20 :: v_dual_add_f32 v39, v71, v39
	v_fmac_f32_e32 v20, 0xbf4178ce, v22
	v_fmamk_f32 v22, v24, 0xbf27a4f4, v79
	v_fma_f32 v79, 0xbf27a4f4, v24, -v79
	v_fmamk_f32 v119, v24, 0xbe11bafb, v81
	v_fma_f32 v81, 0xbe11bafb, v24, -v81
	;; [unrolled: 2-line block ×4, first 2 shown]
	v_dual_fmamk_f32 v125, v24, 0x3ed4b147, v29 :: v_dual_add_f32 v2, v14, v2
	v_fma_f32 v24, 0x3ed4b147, v24, -v29
	v_dual_fmamk_f32 v29, v32, 0x3e903f40, v88 :: v_dual_add_f32 v6, v66, v6
	v_dual_fmac_f32 v88, 0xbe903f40, v32 :: v_dual_add_f32 v7, v41, v21
	v_fmac_f32_e32 v90, 0x3f0a6770, v32
	v_dual_fmamk_f32 v130, v32, 0x3f4178ce, v92 :: v_dual_add_f32 v21, v42, v34
	v_fmac_f32_e32 v92, 0xbf4178ce, v32
	v_fmamk_f32 v132, v32, 0xbf68dda4, v94
	v_fmac_f32_e32 v94, 0x3f68dda4, v32
	v_fmamk_f32 v134, v32, 0x3f7d64f0, v31
	v_dual_fmac_f32 v31, 0xbf7d64f0, v32 :: v_dual_add_f32 v32, v70, v95
	v_fma_f32 v75, 0x3ed4b147, v19, -v75
	v_fma_f32 v77, 0x3f575c64, v19, -v77
	v_dual_fmamk_f32 v117, v19, 0xbf27a4f4, v23 :: v_dual_add_f32 v34, v106, v54
	v_fma_f32 v19, 0xbf27a4f4, v19, -v23
	v_fmamk_f32 v23, v28, 0x3f4178ce, v80
	v_fmac_f32_e32 v80, 0xbf4178ce, v28
	v_dual_fmac_f32 v82, 0x3f7d64f0, v28 :: v_dual_add_f32 v95, v70, v99
	v_fmac_f32_e32 v84, 0xbf0a6770, v28
	v_dual_fmamk_f32 v124, v28, 0x3e903f40, v86 :: v_dual_add_f32 v3, v71, v3
	v_fmac_f32_e32 v86, 0xbe903f40, v28
	v_dual_fmamk_f32 v126, v28, 0xbf68dda4, v25 :: v_dual_add_f32 v1, v1, v9
	v_dual_fmac_f32 v25, 0x3f68dda4, v28 :: v_dual_add_f32 v38, v64, v38
	v_dual_fmamk_f32 v28, v30, 0xbf75a155, v87 :: v_dual_add_f32 v5, v5, v8
	v_fma_f32 v87, 0xbf75a155, v30, -v87
	v_fmamk_f32 v127, v30, 0x3f575c64, v89
	v_fma_f32 v89, 0x3f575c64, v30, -v89
	v_dual_fmamk_f32 v129, v30, 0xbf27a4f4, v91 :: v_dual_add_f32 v0, v0, v56
	v_fma_f32 v91, 0xbf27a4f4, v30, -v91
	v_dual_fmamk_f32 v131, v30, 0x3ed4b147, v93 :: v_dual_add_f32 v4, v16, v4
	v_fma_f32 v93, 0x3ed4b147, v30, -v93
	v_dual_add_f32 v8, v103, v32 :: v_dual_fmamk_f32 v133, v30, 0xbe11bafb, v33
	v_fma_f32 v30, 0xbe11bafb, v30, -v33
	v_add_f32_e32 v33, v71, v96
	v_add_f32_e32 v96, v71, v100
	s_delay_alu instid0(VALU_DEP_4) | instskip(SKIP_1) | instid1(VALU_DEP_4)
	v_dual_add_f32 v8, v111, v8 :: v_dual_add_f32 v53, v70, v97
	v_add_f32_e32 v97, v70, v101
	v_dual_add_f32 v9, v104, v33 :: v_dual_add_f32 v32, v43, v35
	v_add_f32_e32 v35, v62, v36
	s_delay_alu instid0(VALU_DEP_4)
	v_add_f32_e32 v33, v105, v53
	v_add_f32_e32 v36, v63, v37
	v_dual_add_f32 v37, v107, v95 :: v_dual_add_f32 v40, v108, v96
	v_dual_add_f32 v39, v65, v39 :: v_dual_add_f32 v14, v74, v32
	v_add_f32_e32 v1, v1, v10
	v_dual_add_f32 v41, v109, v97 :: v_dual_add_f32 v16, v114, v34
	v_dual_add_f32 v42, v110, v98 :: v_dual_add_f32 v3, v15, v3
	;; [unrolled: 1-line block ×3, first 2 shown]
	v_add_f32_e32 v2, v19, v2
	v_dual_add_f32 v7, v67, v7 :: v_dual_add_f32 v10, v69, v21
	v_dual_add_f32 v15, v113, v33 :: v_dual_add_f32 v6, v79, v6
	;; [unrolled: 1-line block ×4, first 2 shown]
	s_delay_alu instid0(VALU_DEP_4)
	v_dual_add_f32 v10, v81, v10 :: v_dual_add_f32 v35, v78, v39
	v_dual_add_f32 v0, v0, v57 :: v_dual_add_f32 v1, v1, v11
	v_lshlrev_b64_e32 v[26:27], 3, v[26:27]
	v_dual_add_f32 v9, v112, v9 :: v_dual_add_f32 v4, v22, v4
	v_dual_add_f32 v36, v117, v41 :: v_dual_add_f32 v37, v118, v42
	;; [unrolled: 1-line block ×3, first 2 shown]
	v_add_f32_e32 v5, v23, v5
	v_add_f32_e32 v7, v80, v7
	v_dual_add_f32 v11, v82, v14 :: v_dual_add_f32 v20, v124, v33
	v_dual_add_f32 v14, v121, v15 :: v_dual_add_f32 v15, v122, v16
	v_add_f32_e32 v24, v24, v2
	v_add_f32_e32 v16, v83, v18
	v_dual_add_f32 v18, v84, v21 :: v_dual_add_f32 v21, v85, v34
	v_dual_add_f32 v33, v0, v58 :: v_dual_add_f32 v34, v1, v12
	v_lshlrev_b64_e32 v[44:45], 3, v[44:45]
	v_lshlrev_b64_e32 v[46:47], 3, v[46:47]
	v_add_co_u32 v26, vcc_lo, v72, v26
	v_dual_add_f32 v9, v120, v9 :: v_dual_add_f32 v22, v86, v35
	v_add_f32_e32 v19, v123, v32
	v_dual_add_f32 v23, v125, v36 :: v_dual_add_f32 v2, v87, v6
	v_dual_add_f32 v32, v126, v37 :: v_dual_add_f32 v25, v25, v3
	v_add_f32_e32 v1, v29, v5
	v_dual_add_f32 v3, v88, v7 :: v_dual_add_f32 v6, v89, v10
	v_dual_add_f32 v7, v90, v11 :: v_dual_add_f32 v10, v91, v16
	;; [unrolled: 1-line block ×3, first 2 shown]
	v_add_f32_e32 v18, v34, v13
	s_wait_alu 0xfffd
	v_add_co_ci_u32_e32 v27, vcc_lo, v73, v27, vcc_lo
	v_add_co_u32 v44, vcc_lo, v72, v44
	v_lshlrev_b64_e32 v[48:49], 3, v[48:49]
	s_wait_alu 0xfffd
	v_add_co_ci_u32_e32 v45, vcc_lo, v73, v45, vcc_lo
	v_add_co_u32 v46, vcc_lo, v72, v46
	v_add_f32_e32 v0, v28, v4
	v_dual_add_f32 v5, v128, v9 :: v_dual_add_f32 v12, v131, v19
	v_add_f32_e32 v9, v130, v15
	v_dual_add_f32 v15, v94, v22 :: v_dual_add_f32 v16, v16, v61
	v_dual_add_f32 v17, v18, v17 :: v_dual_add_nc_u32 v22, 0x224, v68
	v_lshlrev_b64_e32 v[50:51], 3, v[50:51]
	s_wait_alu 0xfffd
	v_add_co_ci_u32_e32 v47, vcc_lo, v73, v47, vcc_lo
	v_add_f32_e32 v4, v127, v8
	s_clause 0x2
	global_store_b64 v[26:27], v[16:17], off
	global_store_b64 v[44:45], v[0:1], off
	;; [unrolled: 1-line block ×3, first 2 shown]
	v_add_co_u32 v0, vcc_lo, v72, v48
	s_wait_alu 0xfffd
	v_add_co_ci_u32_e32 v1, vcc_lo, v73, v49, vcc_lo
	v_add_co_u32 v4, vcc_lo, v72, v50
	v_dual_add_f32 v8, v129, v14 :: v_dual_add_f32 v13, v132, v20
	v_add_f32_e32 v18, v133, v23
	s_wait_alu 0xfffd
	v_add_co_ci_u32_e32 v5, vcc_lo, v73, v51, vcc_lo
	v_mad_co_u64_u32 v[16:17], null, s16, v22, 0
	v_add_nc_u32_e32 v23, 0x278, v68
	v_dual_mov_b32 v53, v59 :: v_dual_add_nc_u32 v28, 0x374, v68
	v_add_f32_e32 v14, v93, v21
	s_clause 0x1
	global_store_b64 v[0:1], v[8:9], off
	global_store_b64 v[4:5], v[12:13], off
	v_mad_co_u64_u32 v[4:5], null, s16, v23, 0
	v_dual_add_f32 v19, v134, v32 :: v_dual_mov_b32 v8, v17
	v_lshlrev_b64_e32 v[0:1], 3, v[52:53]
	v_add_nc_u32_e32 v27, 0x320, v68
	v_dual_add_f32 v20, v30, v24 :: v_dual_add_f32 v21, v31, v25
	s_delay_alu instid0(VALU_DEP_4) | instskip(SKIP_1) | instid1(VALU_DEP_4)
	v_mad_co_u64_u32 v[8:9], null, s17, v22, v[8:9]
	v_mad_co_u64_u32 v[22:23], null, s17, v23, v[5:6]
	;; [unrolled: 1-line block ×3, first 2 shown]
	v_add_co_u32 v0, vcc_lo, v72, v0
	s_wait_alu 0xfffd
	v_add_co_ci_u32_e32 v1, vcc_lo, v73, v1, vcc_lo
	v_mov_b32_e32 v17, v8
	v_mad_co_u64_u32 v[8:9], null, s16, v28, 0
	global_store_b64 v[0:1], v[18:19], off
	v_mov_b32_e32 v0, v24
	v_lshlrev_b64_e32 v[16:17], 3, v[16:17]
	s_delay_alu instid0(VALU_DEP_2) | instskip(SKIP_2) | instid1(VALU_DEP_4)
	v_mad_co_u64_u32 v[0:1], null, s17, v27, v[0:1]
	v_add_nc_u32_e32 v25, 0x2cc, v68
	v_mov_b32_e32 v1, v9
	v_add_co_u32 v16, vcc_lo, v72, v16
	s_wait_alu 0xfffd
	v_add_co_ci_u32_e32 v17, vcc_lo, v73, v17, vcc_lo
	v_mov_b32_e32 v24, v0
	v_mad_co_u64_u32 v[12:13], null, s16, v25, 0
	v_mad_co_u64_u32 v[18:19], null, s17, v28, v[1:2]
	s_delay_alu instid0(VALU_DEP_2) | instskip(NEXT) | instid1(VALU_DEP_2)
	v_mov_b32_e32 v5, v13
	v_mov_b32_e32 v9, v18
	s_delay_alu instid0(VALU_DEP_2) | instskip(SKIP_1) | instid1(VALU_DEP_3)
	v_mad_co_u64_u32 v[25:26], null, s17, v25, v[5:6]
	v_mov_b32_e32 v5, v22
	v_lshlrev_b64_e32 v[8:9], 3, v[8:9]
	s_delay_alu instid0(VALU_DEP_2) | instskip(NEXT) | instid1(VALU_DEP_4)
	v_lshlrev_b64_e32 v[4:5], 3, v[4:5]
	v_mov_b32_e32 v13, v25
	s_delay_alu instid0(VALU_DEP_1) | instskip(NEXT) | instid1(VALU_DEP_3)
	v_lshlrev_b64_e32 v[12:13], 3, v[12:13]
	v_add_co_u32 v0, vcc_lo, v72, v4
	s_wait_alu 0xfffd
	s_delay_alu instid0(VALU_DEP_4) | instskip(SKIP_1) | instid1(VALU_DEP_4)
	v_add_co_ci_u32_e32 v1, vcc_lo, v73, v5, vcc_lo
	v_lshlrev_b64_e32 v[4:5], 3, v[23:24]
	v_add_co_u32 v12, vcc_lo, v72, v12
	s_wait_alu 0xfffd
	v_add_co_ci_u32_e32 v13, vcc_lo, v73, v13, vcc_lo
	s_delay_alu instid0(VALU_DEP_3)
	v_add_co_u32 v4, vcc_lo, v72, v4
	s_wait_alu 0xfffd
	v_add_co_ci_u32_e32 v5, vcc_lo, v73, v5, vcc_lo
	v_add_co_u32 v8, vcc_lo, v72, v8
	s_wait_alu 0xfffd
	v_add_co_ci_u32_e32 v9, vcc_lo, v73, v9, vcc_lo
	s_clause 0x4
	global_store_b64 v[16:17], v[20:21], off
	global_store_b64 v[0:1], v[14:15], off
	;; [unrolled: 1-line block ×5, first 2 shown]
.LBB0_34:
	s_nop 0
	s_sendmsg sendmsg(MSG_DEALLOC_VGPRS)
	s_endpgm
	.section	.rodata,"a",@progbits
	.p2align	6, 0x0
	.amdhsa_kernel fft_rtc_back_len924_factors_2_2_3_7_11_wgs_44_tpt_44_halfLds_sp_op_CI_CI_sbrr_dirReg
		.amdhsa_group_segment_fixed_size 0
		.amdhsa_private_segment_fixed_size 0
		.amdhsa_kernarg_size 104
		.amdhsa_user_sgpr_count 2
		.amdhsa_user_sgpr_dispatch_ptr 0
		.amdhsa_user_sgpr_queue_ptr 0
		.amdhsa_user_sgpr_kernarg_segment_ptr 1
		.amdhsa_user_sgpr_dispatch_id 0
		.amdhsa_user_sgpr_private_segment_size 0
		.amdhsa_wavefront_size32 1
		.amdhsa_uses_dynamic_stack 0
		.amdhsa_enable_private_segment 0
		.amdhsa_system_sgpr_workgroup_id_x 1
		.amdhsa_system_sgpr_workgroup_id_y 0
		.amdhsa_system_sgpr_workgroup_id_z 0
		.amdhsa_system_sgpr_workgroup_info 0
		.amdhsa_system_vgpr_workitem_id 0
		.amdhsa_next_free_vgpr 158
		.amdhsa_next_free_sgpr 43
		.amdhsa_reserve_vcc 1
		.amdhsa_float_round_mode_32 0
		.amdhsa_float_round_mode_16_64 0
		.amdhsa_float_denorm_mode_32 3
		.amdhsa_float_denorm_mode_16_64 3
		.amdhsa_fp16_overflow 0
		.amdhsa_workgroup_processor_mode 1
		.amdhsa_memory_ordered 1
		.amdhsa_forward_progress 0
		.amdhsa_round_robin_scheduling 0
		.amdhsa_exception_fp_ieee_invalid_op 0
		.amdhsa_exception_fp_denorm_src 0
		.amdhsa_exception_fp_ieee_div_zero 0
		.amdhsa_exception_fp_ieee_overflow 0
		.amdhsa_exception_fp_ieee_underflow 0
		.amdhsa_exception_fp_ieee_inexact 0
		.amdhsa_exception_int_div_zero 0
	.end_amdhsa_kernel
	.text
.Lfunc_end0:
	.size	fft_rtc_back_len924_factors_2_2_3_7_11_wgs_44_tpt_44_halfLds_sp_op_CI_CI_sbrr_dirReg, .Lfunc_end0-fft_rtc_back_len924_factors_2_2_3_7_11_wgs_44_tpt_44_halfLds_sp_op_CI_CI_sbrr_dirReg
                                        ; -- End function
	.section	.AMDGPU.csdata,"",@progbits
; Kernel info:
; codeLenInByte = 16336
; NumSgprs: 45
; NumVgprs: 158
; ScratchSize: 0
; MemoryBound: 0
; FloatMode: 240
; IeeeMode: 1
; LDSByteSize: 0 bytes/workgroup (compile time only)
; SGPRBlocks: 5
; VGPRBlocks: 19
; NumSGPRsForWavesPerEU: 45
; NumVGPRsForWavesPerEU: 158
; Occupancy: 9
; WaveLimiterHint : 1
; COMPUTE_PGM_RSRC2:SCRATCH_EN: 0
; COMPUTE_PGM_RSRC2:USER_SGPR: 2
; COMPUTE_PGM_RSRC2:TRAP_HANDLER: 0
; COMPUTE_PGM_RSRC2:TGID_X_EN: 1
; COMPUTE_PGM_RSRC2:TGID_Y_EN: 0
; COMPUTE_PGM_RSRC2:TGID_Z_EN: 0
; COMPUTE_PGM_RSRC2:TIDIG_COMP_CNT: 0
	.text
	.p2alignl 7, 3214868480
	.fill 96, 4, 3214868480
	.type	__hip_cuid_63790dc82256ba7,@object ; @__hip_cuid_63790dc82256ba7
	.section	.bss,"aw",@nobits
	.globl	__hip_cuid_63790dc82256ba7
__hip_cuid_63790dc82256ba7:
	.byte	0                               ; 0x0
	.size	__hip_cuid_63790dc82256ba7, 1

	.ident	"AMD clang version 19.0.0git (https://github.com/RadeonOpenCompute/llvm-project roc-6.4.0 25133 c7fe45cf4b819c5991fe208aaa96edf142730f1d)"
	.section	".note.GNU-stack","",@progbits
	.addrsig
	.addrsig_sym __hip_cuid_63790dc82256ba7
	.amdgpu_metadata
---
amdhsa.kernels:
  - .args:
      - .actual_access:  read_only
        .address_space:  global
        .offset:         0
        .size:           8
        .value_kind:     global_buffer
      - .offset:         8
        .size:           8
        .value_kind:     by_value
      - .actual_access:  read_only
        .address_space:  global
        .offset:         16
        .size:           8
        .value_kind:     global_buffer
      - .actual_access:  read_only
        .address_space:  global
        .offset:         24
        .size:           8
        .value_kind:     global_buffer
      - .actual_access:  read_only
        .address_space:  global
        .offset:         32
        .size:           8
        .value_kind:     global_buffer
      - .offset:         40
        .size:           8
        .value_kind:     by_value
      - .actual_access:  read_only
        .address_space:  global
        .offset:         48
        .size:           8
        .value_kind:     global_buffer
      - .actual_access:  read_only
        .address_space:  global
        .offset:         56
        .size:           8
        .value_kind:     global_buffer
      - .offset:         64
        .size:           4
        .value_kind:     by_value
      - .actual_access:  read_only
        .address_space:  global
        .offset:         72
        .size:           8
        .value_kind:     global_buffer
      - .actual_access:  read_only
        .address_space:  global
        .offset:         80
        .size:           8
        .value_kind:     global_buffer
      - .actual_access:  read_only
        .address_space:  global
        .offset:         88
        .size:           8
        .value_kind:     global_buffer
      - .actual_access:  write_only
        .address_space:  global
        .offset:         96
        .size:           8
        .value_kind:     global_buffer
    .group_segment_fixed_size: 0
    .kernarg_segment_align: 8
    .kernarg_segment_size: 104
    .language:       OpenCL C
    .language_version:
      - 2
      - 0
    .max_flat_workgroup_size: 44
    .name:           fft_rtc_back_len924_factors_2_2_3_7_11_wgs_44_tpt_44_halfLds_sp_op_CI_CI_sbrr_dirReg
    .private_segment_fixed_size: 0
    .sgpr_count:     45
    .sgpr_spill_count: 0
    .symbol:         fft_rtc_back_len924_factors_2_2_3_7_11_wgs_44_tpt_44_halfLds_sp_op_CI_CI_sbrr_dirReg.kd
    .uniform_work_group_size: 1
    .uses_dynamic_stack: false
    .vgpr_count:     158
    .vgpr_spill_count: 0
    .wavefront_size: 32
    .workgroup_processor_mode: 1
amdhsa.target:   amdgcn-amd-amdhsa--gfx1201
amdhsa.version:
  - 1
  - 2
...

	.end_amdgpu_metadata
